;; amdgpu-corpus repo=ROCm/rocFFT kind=compiled arch=gfx1201 opt=O3
	.text
	.amdgcn_target "amdgcn-amd-amdhsa--gfx1201"
	.amdhsa_code_object_version 6
	.protected	bluestein_single_fwd_len952_dim1_sp_op_CI_CI ; -- Begin function bluestein_single_fwd_len952_dim1_sp_op_CI_CI
	.globl	bluestein_single_fwd_len952_dim1_sp_op_CI_CI
	.p2align	8
	.type	bluestein_single_fwd_len952_dim1_sp_op_CI_CI,@function
bluestein_single_fwd_len952_dim1_sp_op_CI_CI: ; @bluestein_single_fwd_len952_dim1_sp_op_CI_CI
; %bb.0:
	s_load_b128 s[4:7], s[0:1], 0x28
	v_mul_u32_u24_e32 v1, 0x3c4, v0
	s_mov_b32 s2, exec_lo
	s_delay_alu instid0(VALU_DEP_1) | instskip(NEXT) | instid1(VALU_DEP_1)
	v_lshrrev_b32_e32 v1, 16, v1
	v_mad_co_u64_u32 v[72:73], null, ttmp9, 3, v[1:2]
	v_mov_b32_e32 v73, 0
                                        ; kill: def $vgpr2 killed $sgpr0 killed $exec
	s_wait_kmcnt 0x0
	s_delay_alu instid0(VALU_DEP_1)
	v_cmpx_gt_u64_e64 s[4:5], v[72:73]
	s_cbranch_execz .LBB0_23
; %bb.1:
	v_mul_hi_u32 v2, 0xaaaaaaab, v72
	v_mul_lo_u16 v1, 0x44, v1
	s_clause 0x1
	s_load_b64 s[12:13], s[0:1], 0x0
	s_load_b64 s[14:15], s[0:1], 0x38
	s_delay_alu instid0(VALU_DEP_1) | instskip(NEXT) | instid1(VALU_DEP_3)
	v_sub_nc_u16 v0, v0, v1
	v_lshrrev_b32_e32 v2, 1, v2
	s_delay_alu instid0(VALU_DEP_2) | instskip(SKIP_1) | instid1(VALU_DEP_3)
	v_and_b32_e32 v106, 0xffff, v0
	v_cmp_gt_u16_e32 vcc_lo, 56, v0
	v_lshl_add_u32 v2, v2, 1, v2
	s_delay_alu instid0(VALU_DEP_3) | instskip(SKIP_1) | instid1(VALU_DEP_3)
	v_lshlrev_b32_e32 v104, 3, v106
	v_or_b32_e32 v105, 0x1c0, v106
	v_sub_nc_u32_e32 v1, v72, v2
	v_or_b32_e32 v103, 0x380, v106
	s_delay_alu instid0(VALU_DEP_2) | instskip(NEXT) | instid1(VALU_DEP_1)
	v_mul_u32_u24_e32 v52, 0x3b8, v1
	v_lshlrev_b32_e32 v107, 3, v52
	s_and_saveexec_b32 s3, vcc_lo
	s_cbranch_execz .LBB0_3
; %bb.2:
	s_load_b64 s[4:5], s[0:1], 0x18
	s_delay_alu instid0(VALU_DEP_1)
	v_lshl_add_u32 v51, v106, 3, v107
	s_wait_kmcnt 0x0
	s_load_b128 s[8:11], s[4:5], 0x0
	s_wait_kmcnt 0x0
	v_mad_co_u64_u32 v[0:1], null, s10, v72, 0
	v_mad_co_u64_u32 v[2:3], null, s8, v106, 0
	;; [unrolled: 1-line block ×3, first 2 shown]
	s_mul_u64 s[4:5], s[8:9], 0x1c0
	s_delay_alu instid0(VALU_DEP_2) | instskip(SKIP_1) | instid1(VALU_DEP_3)
	v_mad_co_u64_u32 v[6:7], null, s11, v72, v[1:2]
	v_mad_co_u64_u32 v[7:8], null, s8, v103, 0
	;; [unrolled: 1-line block ×3, first 2 shown]
	s_clause 0x1
	global_load_b64 v[10:11], v104, s[12:13]
	global_load_b64 v[12:13], v104, s[12:13] offset:3584
	v_dual_mov_b32 v1, v6 :: v_dual_mov_b32 v6, v8
	s_delay_alu instid0(VALU_DEP_1) | instskip(NEXT) | instid1(VALU_DEP_2)
	v_lshlrev_b64_e32 v[0:1], 3, v[0:1]
	v_mad_co_u64_u32 v[14:15], null, s9, v103, v[6:7]
	v_mov_b32_e32 v3, v9
	v_mad_co_u64_u32 v[8:9], null, s9, v105, v[5:6]
	s_delay_alu instid0(VALU_DEP_4) | instskip(NEXT) | instid1(VALU_DEP_1)
	v_add_co_u32 v18, s2, s6, v0
	v_add_co_ci_u32_e64 v19, s2, s7, v1, s2
	s_delay_alu instid0(VALU_DEP_3) | instskip(SKIP_1) | instid1(VALU_DEP_2)
	v_dual_mov_b32 v5, v8 :: v_dual_mov_b32 v8, v14
	v_lshlrev_b64_e32 v[2:3], 3, v[2:3]
	v_lshlrev_b64_e32 v[4:5], 3, v[4:5]
	s_delay_alu instid0(VALU_DEP_3) | instskip(NEXT) | instid1(VALU_DEP_3)
	v_lshlrev_b64_e32 v[6:7], 3, v[7:8]
	v_add_co_u32 v0, s2, v18, v2
	s_wait_alu 0xf1ff
	s_delay_alu instid0(VALU_DEP_4) | instskip(SKIP_1) | instid1(VALU_DEP_2)
	v_add_co_ci_u32_e64 v1, s2, v19, v3, s2
	s_wait_alu 0xfffe
	v_add_co_u32 v2, s2, v0, s4
	s_wait_alu 0xf1ff
	s_delay_alu instid0(VALU_DEP_2) | instskip(SKIP_4) | instid1(VALU_DEP_2)
	v_add_co_ci_u32_e64 v3, s2, s5, v1, s2
	global_load_b64 v[0:1], v[0:1], off
	v_add_co_u32 v14, s2, v2, s4
	s_wait_alu 0xf1ff
	v_add_co_ci_u32_e64 v15, s2, s5, v3, s2
	v_add_co_u32 v8, s2, v14, s4
	s_wait_alu 0xf1ff
	s_delay_alu instid0(VALU_DEP_2)
	v_add_co_ci_u32_e64 v9, s2, s5, v15, s2
	v_add_co_u32 v4, s2, v18, v4
	s_wait_alu 0xf1ff
	v_add_co_ci_u32_e64 v5, s2, v19, v5, s2
	v_add_co_u32 v16, s2, v8, s4
	s_wait_alu 0xf1ff
	v_add_co_ci_u32_e64 v17, s2, s5, v9, s2
	global_load_b64 v[4:5], v[4:5], off
	v_add_co_u32 v6, s2, v18, v6
	s_wait_alu 0xf1ff
	v_add_co_ci_u32_e64 v7, s2, v19, v7, s2
	v_add_co_u32 v18, s2, v16, s4
	s_wait_alu 0xf1ff
	v_add_co_ci_u32_e64 v19, s2, s5, v17, s2
	global_load_b64 v[24:25], v104, s[12:13] offset:7168
	s_clause 0x1
	global_load_b64 v[6:7], v[6:7], off
	global_load_b64 v[2:3], v[2:3], off
	s_clause 0x2
	global_load_b64 v[28:29], v104, s[12:13] offset:448
	global_load_b64 v[30:31], v104, s[12:13] offset:896
	;; [unrolled: 1-line block ×3, first 2 shown]
	s_clause 0x1
	global_load_b64 v[14:15], v[14:15], off
	global_load_b64 v[8:9], v[8:9], off
	s_clause 0x3
	global_load_b64 v[34:35], v104, s[12:13] offset:1792
	global_load_b64 v[36:37], v104, s[12:13] offset:2240
	;; [unrolled: 1-line block ×4, first 2 shown]
	global_load_b64 v[16:17], v[16:17], off
	v_add_co_u32 v20, s2, v18, s4
	s_wait_alu 0xf1ff
	v_add_co_ci_u32_e64 v21, s2, s5, v19, s2
	s_delay_alu instid0(VALU_DEP_2) | instskip(SKIP_1) | instid1(VALU_DEP_2)
	v_add_co_u32 v22, s2, v20, s4
	s_wait_alu 0xf1ff
	v_add_co_ci_u32_e64 v23, s2, s5, v21, s2
	s_delay_alu instid0(VALU_DEP_1) | instskip(NEXT) | instid1(VALU_DEP_1)
	v_mad_co_u64_u32 v[26:27], null, 0x380, s8, v[22:23]
	v_add_co_u32 v55, s2, v26, s4
	s_wait_loadcnt 0xe
	v_mul_f32_e32 v73, v1, v11
	v_mul_f32_e32 v74, v0, v11
	s_delay_alu instid0(VALU_DEP_2) | instskip(NEXT) | instid1(VALU_DEP_2)
	v_fmac_f32_e32 v73, v0, v10
	v_fma_f32 v74, v1, v10, -v74
	s_wait_loadcnt 0xd
	v_mul_f32_e32 v11, v5, v13
	s_wait_loadcnt 0x9
	v_mad_co_u64_u32 v[42:43], null, 0x380, s9, v[27:28]
	s_clause 0x2
	global_load_b64 v[43:44], v104, s[12:13] offset:4032
	global_load_b64 v[45:46], v104, s[12:13] offset:4480
	;; [unrolled: 1-line block ×3, first 2 shown]
	global_load_b64 v[18:19], v[18:19], off
	s_clause 0x1
	global_load_b64 v[49:50], v104, s[12:13] offset:5376
	global_load_b64 v[53:54], v104, s[12:13] offset:5824
	global_load_b64 v[20:21], v[20:21], off
	global_load_b64 v[22:23], v[22:23], off
	v_mul_f32_e32 v13, v4, v13
	v_dual_mov_b32 v27, v42 :: v_dual_add_nc_u32 v42, v107, v104
	v_mul_f32_e32 v0, v3, v29
	s_delay_alu instid0(VALU_DEP_2) | instskip(SKIP_1) | instid1(VALU_DEP_3)
	v_dual_mul_f32 v1, v2, v29 :: v_dual_add_nc_u32 v78, 0x1000, v42
	s_wait_alu 0xf1ff
	v_add_co_ci_u32_e64 v56, s2, s5, v27, s2
	v_add_co_u32 v57, s2, v55, s4
	global_load_b64 v[26:27], v[26:27], off
	s_wait_alu 0xf1ff
	v_add_co_ci_u32_e64 v58, s2, s5, v56, s2
	v_add_co_u32 v59, s2, v57, s4
	global_load_b64 v[55:56], v[55:56], off
	;; [unrolled: 4-line block ×5, first 2 shown]
	s_wait_alu 0xf1ff
	v_add_co_ci_u32_e64 v66, s2, s5, v64, s2
	global_load_b64 v[63:64], v[63:64], off
	s_clause 0x1
	global_load_b64 v[67:68], v104, s[12:13] offset:6272
	global_load_b64 v[69:70], v104, s[12:13] offset:6720
	global_load_b64 v[65:66], v[65:66], off
	v_add_nc_u32_e32 v71, 0x800, v42
	v_add_nc_u32_e32 v77, 0xc00, v42
	v_dual_fmac_f32 v0, v2, v28 :: v_dual_add_nc_u32 v79, 0x1400, v42
	s_wait_loadcnt 0x17
	v_dual_mul_f32 v2, v15, v31 :: v_dual_fmac_f32 v11, v4, v12
	s_wait_loadcnt 0x16
	v_mul_f32_e32 v4, v9, v33
	v_mul_f32_e32 v75, v7, v25
	;; [unrolled: 1-line block ×3, first 2 shown]
	v_fmac_f32_e32 v2, v14, v30
	ds_store_b64 v51, v[73:74]
	v_fmac_f32_e32 v4, v8, v32
	s_wait_loadcnt 0x11
	v_dual_fmac_f32 v75, v6, v24 :: v_dual_mul_f32 v6, v17, v35
	v_fma_f32 v12, v5, v12, -v13
	s_delay_alu instid0(VALU_DEP_2)
	v_dual_mul_f32 v5, v14, v31 :: v_dual_fmac_f32 v6, v16, v34
	v_fma_f32 v76, v7, v24, -v25
	v_mul_f32_e32 v7, v8, v33
	s_wait_loadcnt 0xd
	v_mul_f32_e32 v8, v19, v37
	s_wait_loadcnt 0xa
	v_mul_f32_e32 v10, v20, v39
	v_fma_f32 v1, v3, v28, -v1
	s_delay_alu instid0(VALU_DEP_3)
	v_fmac_f32_e32 v8, v18, v36
	v_fma_f32 v3, v15, v30, -v5
	v_fma_f32 v5, v9, v32, -v7
	s_wait_loadcnt 0x9
	v_dual_mul_f32 v7, v16, v35 :: v_dual_mul_f32 v16, v22, v41
	v_mul_f32_e32 v9, v18, v37
	v_mul_f32_e32 v15, v23, v41
	v_fma_f32 v14, v21, v38, -v10
	s_delay_alu instid0(VALU_DEP_4)
	v_fma_f32 v7, v17, v34, -v7
	ds_store_2addr_b64 v42, v[0:1], v[2:3] offset0:56 offset1:112
	ds_store_2addr_b64 v42, v[4:5], v[6:7] offset0:168 offset1:224
	v_fma_f32 v16, v23, v40, -v16
	s_wait_loadcnt 0x8
	v_mul_f32_e32 v0, v27, v44
	s_wait_loadcnt 0x7
	v_dual_mul_f32 v2, v56, v46 :: v_dual_mul_f32 v13, v21, v39
	s_delay_alu instid0(VALU_DEP_2) | instskip(NEXT) | instid1(VALU_DEP_2)
	v_fmac_f32_e32 v0, v26, v43
	v_dual_fmac_f32 v2, v55, v45 :: v_dual_fmac_f32 v13, v20, v38
	s_wait_loadcnt 0x6
	v_mul_f32_e32 v4, v58, v48
	v_fmac_f32_e32 v15, v22, v40
	s_wait_loadcnt 0x5
	v_dual_mul_f32 v5, v57, v48 :: v_dual_mul_f32 v6, v60, v50
	v_fma_f32 v9, v19, v36, -v9
	v_mul_f32_e32 v1, v26, v44
	v_dual_mul_f32 v7, v59, v50 :: v_dual_fmac_f32 v4, v57, v47
	ds_store_2addr_b64 v71, v[15:16], v[11:12] offset0:136 offset1:192
	s_wait_loadcnt 0x2
	v_mul_f32_e32 v10, v64, v68
	ds_store_2addr_b64 v71, v[8:9], v[13:14] offset0:24 offset1:80
	v_mul_f32_e32 v8, v62, v54
	v_mul_f32_e32 v3, v55, v46
	v_dual_mul_f32 v9, v61, v54 :: v_dual_fmac_f32 v10, v63, v67
	s_wait_loadcnt 0x0
	v_dual_mul_f32 v11, v63, v68 :: v_dual_mul_f32 v12, v66, v70
	v_dual_mul_f32 v13, v65, v70 :: v_dual_fmac_f32 v6, v59, v49
	v_fma_f32 v1, v27, v43, -v1
	v_fmac_f32_e32 v8, v61, v53
	v_fma_f32 v3, v56, v45, -v3
	v_fma_f32 v5, v58, v47, -v5
	;; [unrolled: 1-line block ×5, first 2 shown]
	v_fmac_f32_e32 v12, v65, v69
	v_fma_f32 v13, v66, v69, -v13
	v_add_nc_u32_e32 v14, 0x1800, v42
	ds_store_2addr_b64 v77, v[0:1], v[2:3] offset0:120 offset1:176
	ds_store_2addr_b64 v78, v[4:5], v[6:7] offset0:104 offset1:160
	;; [unrolled: 1-line block ×4, first 2 shown]
.LBB0_3:
	s_or_b32 exec_lo, exec_lo, s3
	v_mov_b32_e32 v4, 0
	v_mov_b32_e32 v5, 0
	global_wb scope:SCOPE_SE
	s_wait_dscnt 0x0
	s_wait_kmcnt 0x0
	s_barrier_signal -1
	s_barrier_wait -1
	global_inv scope:SCOPE_SE
                                        ; implicit-def: $vgpr10
                                        ; implicit-def: $vgpr0
                                        ; implicit-def: $vgpr14
                                        ; implicit-def: $vgpr18
                                        ; implicit-def: $vgpr22
                                        ; implicit-def: $vgpr30
                                        ; implicit-def: $vgpr34
                                        ; implicit-def: $vgpr26
	s_and_saveexec_b32 s2, vcc_lo
	s_cbranch_execz .LBB0_5
; %bb.4:
	v_lshl_add_u32 v0, v52, 3, v104
	s_delay_alu instid0(VALU_DEP_1)
	v_add_nc_u32_e32 v1, 0x400, v0
	v_add_nc_u32_e32 v2, 0x800, v0
	;; [unrolled: 1-line block ×4, first 2 shown]
	ds_load_2addr_b64 v[4:7], v0 offset1:56
	ds_load_2addr_b64 v[24:27], v0 offset0:112 offset1:168
	ds_load_2addr_b64 v[32:35], v1 offset0:96 offset1:152
	;; [unrolled: 1-line block ×7, first 2 shown]
	ds_load_b64 v[0:1], v0 offset:7168
.LBB0_5:
	s_wait_alu 0xfffe
	s_or_b32 exec_lo, exec_lo, s2
	s_wait_dscnt 0x0
	v_sub_f32_e32 v114, v6, v0
	v_sub_f32_e32 v46, v7, v1
	;; [unrolled: 1-line block ×4, first 2 shown]
	v_add_f32_e32 v120, v8, v26
	v_dual_mul_f32 v51, 0xbeb8f4ab, v114 :: v_dual_add_f32 v108, v1, v7
	v_mul_f32_e32 v69, 0xbf7ee86f, v46
	v_mul_f32_e32 v57, 0xbf2c7751, v46
	;; [unrolled: 1-line block ×3, first 2 shown]
	v_dual_mul_f32 v78, 0xbf7ee86f, v114 :: v_dual_mul_f32 v61, 0xbf7ee86f, v48
	v_fma_f32 v3, 0x3f6eb680, v108, -v51
	v_add_f32_e32 v98, v0, v6
	v_dual_add_f32 v112, v11, v25 :: v_dual_mul_f32 v101, 0x3f06c442, v48
	v_mul_f32_e32 v53, 0xbf2c7751, v48
	v_mul_f32_e32 v54, 0xbf2c7751, v124
	v_dual_mul_f32 v58, 0xbf2c7751, v114 :: v_dual_add_f32 v111, v10, v24
	v_add_f32_e32 v3, v3, v5
	v_fma_f32 v41, 0x3dbcf732, v108, -v78
	v_fmamk_f32 v36, v98, 0x3f3d2fb0, v57
	v_fma_f32 v45, 0x3f3d2fb0, v112, -v54
	v_mul_f32_e32 v66, 0xbf65296c, v114
	v_fma_f32 v37, 0x3f3d2fb0, v108, -v58
	v_dual_mul_f32 v50, 0xbeb8f4ab, v46 :: v_dual_add_f32 v41, v41, v5
	v_dual_add_f32 v36, v36, v4 :: v_dual_fmamk_f32 v47, v111, 0x3dbcf732, v61
	v_add_f32_e32 v3, v45, v3
	v_fma_f32 v39, 0x3ee437d1, v108, -v66
	s_delay_alu instid0(VALU_DEP_4) | instskip(NEXT) | instid1(VALU_DEP_4)
	v_dual_add_f32 v37, v37, v5 :: v_dual_fmamk_f32 v2, v98, 0x3f6eb680, v50
	v_add_f32_e32 v36, v47, v36
	v_fma_f32 v47, 0xbf1a4643, v112, -v75
	s_delay_alu instid0(VALU_DEP_4) | instskip(NEXT) | instid1(VALU_DEP_4)
	v_dual_add_f32 v39, v39, v5 :: v_dual_fmamk_f32 v40, v98, 0x3dbcf732, v69
	v_dual_add_f32 v2, v2, v4 :: v_dual_mul_f32 v89, 0xbf763a35, v46
	v_add_f32_e32 v121, v9, v27
	s_delay_alu instid0(VALU_DEP_3) | instskip(NEXT) | instid1(VALU_DEP_4)
	v_dual_add_f32 v39, v47, v39 :: v_dual_mul_f32 v80, 0xbe3c28d5, v48
	v_add_f32_e32 v40, v40, v4
	s_delay_alu instid0(VALU_DEP_4) | instskip(SKIP_1) | instid1(VALU_DEP_4)
	v_fmamk_f32 v42, v98, 0xbe8c1d8e, v89
	v_dual_mul_f32 v118, 0x3f06c442, v124 :: v_dual_sub_f32 v161, v33, v15
	v_fmamk_f32 v49, v111, 0xbf7ba420, v80
	v_dual_sub_f32 v149, v34, v12 :: v_dual_sub_f32 v156, v28, v18
	v_add_f32_e32 v127, v15, v33
	s_delay_alu instid0(VALU_DEP_4) | instskip(NEXT) | instid1(VALU_DEP_4)
	v_mul_f32_e32 v96, 0x3eb8f4ab, v161
	v_dual_add_f32 v40, v49, v40 :: v_dual_sub_f32 v49, v27, v9
	s_delay_alu instid0(VALU_DEP_4) | instskip(SKIP_1) | instid1(VALU_DEP_3)
	v_dual_add_f32 v42, v42, v4 :: v_dual_mul_f32 v145, 0xbe3c28d5, v149
	v_dual_mul_f32 v102, 0x3f2c7751, v149 :: v_dual_sub_f32 v165, v29, v19
	v_mul_f32_e32 v86, 0x3f763a35, v49
	v_sub_f32_e32 v136, v26, v8
	v_dual_mul_f32 v135, 0xbf06c442, v156 :: v_dual_sub_f32 v164, v31, v17
	s_delay_alu instid0(VALU_DEP_4) | instskip(NEXT) | instid1(VALU_DEP_3)
	v_dual_mul_f32 v146, 0x3f7ee86f, v165 :: v_dual_add_f32 v147, v16, v30
	v_mul_f32_e32 v56, 0xbf65296c, v136
	s_clause 0x1
	s_load_b64 s[4:5], s[0:1], 0x20
	s_load_b64 s[2:3], s[0:1], 0x8
	global_wb scope:SCOPE_SE
	s_wait_kmcnt 0x0
	s_barrier_signal -1
	s_barrier_wait -1
	v_fma_f32 v59, 0x3ee437d1, v121, -v56
	v_mul_f32_e32 v64, 0xbf7ee86f, v124
	global_inv scope:SCOPE_SE
	v_mul_f32_e32 v67, 0xbf4c4adb, v49
	v_mul_f32_e32 v117, 0x3f2c7751, v49
	v_add_f32_e32 v3, v59, v3
	v_fmamk_f32 v59, v120, 0xbe8c1d8e, v86
	v_mul_f32_e32 v99, 0x3f763a35, v136
	v_mul_f32_e32 v71, 0xbf4c4adb, v136
	;; [unrolled: 1-line block ×3, first 2 shown]
	v_dual_sub_f32 v163, v35, v13 :: v_dual_add_f32 v132, v12, v34
	s_delay_alu instid0(VALU_DEP_4) | instskip(SKIP_2) | instid1(VALU_DEP_4)
	v_fma_f32 v60, 0xbe8c1d8e, v121, -v99
	v_mul_f32_e32 v88, 0xbe3c28d5, v124
	v_mul_f32_e32 v77, 0x3e3c28d5, v49
	;; [unrolled: 1-line block ×4, first 2 shown]
	v_add_f32_e32 v133, v13, v35
	v_fma_f32 v55, 0xbf7ba420, v112, -v88
	v_dual_mul_f32 v100, 0xbf763a35, v114 :: v_dual_mul_f32 v65, 0xbf763a35, v149
	v_mul_f32_e32 v87, 0x3f06c442, v149
	v_mul_f32_e32 v95, 0x3f2c7751, v163
	s_delay_alu instid0(VALU_DEP_4) | instskip(NEXT) | instid1(VALU_DEP_4)
	v_add_f32_e32 v41, v55, v41
	v_fma_f32 v43, 0xbe8c1d8e, v108, -v100
	v_dual_mul_f32 v62, 0xbf65296c, v46 :: v_dual_mul_f32 v55, 0xbf65296c, v49
	s_delay_alu instid0(VALU_DEP_3) | instskip(NEXT) | instid1(VALU_DEP_3)
	v_dual_mul_f32 v138, 0xbe3c28d5, v163 :: v_dual_add_f32 v41, v60, v41
	v_add_f32_e32 v43, v43, v5
	v_fmamk_f32 v44, v111, 0x3f3d2fb0, v53
	s_delay_alu instid0(VALU_DEP_4) | instskip(SKIP_2) | instid1(VALU_DEP_4)
	v_fmamk_f32 v47, v120, 0x3ee437d1, v55
	v_add_f32_e32 v141, v19, v29
	v_dual_mul_f32 v97, 0x3f763a35, v156 :: v_dual_add_f32 v148, v17, v31
	v_add_f32_e32 v2, v44, v2
	v_fma_f32 v44, 0x3dbcf732, v112, -v64
	v_fmamk_f32 v38, v98, 0x3ee437d1, v62
	v_mul_f32_e32 v109, 0xbeb8f4ab, v165
	s_delay_alu instid0(VALU_DEP_4) | instskip(NEXT) | instid1(VALU_DEP_4)
	v_dual_sub_f32 v159, v30, v16 :: v_dual_add_f32 v2, v47, v2
	v_dual_add_f32 v37, v44, v37 :: v_dual_fmamk_f32 v44, v111, 0xbf59a7d5, v101
	v_fma_f32 v47, 0xbf7ba420, v121, -v83
	s_delay_alu instid0(VALU_DEP_3) | instskip(SKIP_1) | instid1(VALU_DEP_3)
	v_dual_mul_f32 v81, 0xbf06c442, v164 :: v_dual_mul_f32 v84, 0xbf06c442, v159
	v_dual_mul_f32 v122, 0xbf7ee86f, v164 :: v_dual_mul_f32 v129, 0xbf7ee86f, v159
	v_dual_add_f32 v42, v44, v42 :: v_dual_add_f32 v39, v47, v39
	v_add_f32_e32 v126, v14, v32
	v_sub_f32_e32 v144, v32, v14
	v_dual_mul_f32 v154, 0xbeb8f4ab, v164 :: v_dual_mul_f32 v157, 0xbeb8f4ab, v159
	v_sub_f32_e32 v166, v21, v23
	v_add_f32_e32 v152, v22, v20
	s_delay_alu instid0(VALU_DEP_4) | instskip(SKIP_1) | instid1(VALU_DEP_4)
	v_dual_mul_f32 v60, 0xbf7ee86f, v144 :: v_dual_add_f32 v153, v23, v21
	v_sub_f32_e32 v160, v20, v22
	v_mul_f32_e32 v90, 0xbe3c28d5, v166
	v_mul_f32_e32 v131, 0xbf06c442, v166
	s_delay_alu instid0(VALU_DEP_4) | instskip(SKIP_3) | instid1(VALU_DEP_3)
	v_fma_f32 v63, 0x3dbcf732, v127, -v60
	v_fmamk_f32 v44, v120, 0xbf1a4643, v67
	v_dual_mul_f32 v142, 0x3f2c7751, v166 :: v_dual_mul_f32 v151, 0x3f2c7751, v160
	v_mul_f32_e32 v93, 0xbe3c28d5, v160
	v_dual_add_f32 v3, v63, v3 :: v_dual_add_f32 v36, v44, v36
	v_fma_f32 v44, 0xbf1a4643, v121, -v71
	v_mul_f32_e32 v68, 0xbf4c4adb, v48
	v_fma_f32 v167, 0x3f3d2fb0, v153, -v151
	v_mul_f32_e32 v155, 0xbf4c4adb, v166
	s_delay_alu instid0(VALU_DEP_4) | instskip(NEXT) | instid1(VALU_DEP_4)
	v_dual_add_f32 v37, v44, v37 :: v_dual_add_f32 v38, v38, v4
	v_fmamk_f32 v45, v111, 0xbf1a4643, v68
	v_mul_f32_e32 v130, 0x3f2c7751, v136
	v_fmamk_f32 v44, v120, 0x3f3d2fb0, v117
	v_fmamk_f32 v168, v152, 0xbf1a4643, v155
	s_delay_alu instid0(VALU_DEP_4) | instskip(SKIP_1) | instid1(VALU_DEP_1)
	v_add_f32_e32 v38, v45, v38
	v_fma_f32 v45, 0xbf59a7d5, v112, -v118
	v_add_f32_e32 v43, v45, v43
	v_dual_fmamk_f32 v45, v120, 0xbf7ba420, v77 :: v_dual_add_f32 v40, v59, v40
	s_delay_alu instid0(VALU_DEP_1) | instskip(SKIP_1) | instid1(VALU_DEP_2)
	v_dual_mul_f32 v59, 0xbf7ee86f, v161 :: v_dual_add_f32 v38, v45, v38
	v_fma_f32 v45, 0x3f3d2fb0, v121, -v130
	v_fmamk_f32 v47, v126, 0x3dbcf732, v59
	s_delay_alu instid0(VALU_DEP_2) | instskip(SKIP_4) | instid1(VALU_DEP_3)
	v_add_f32_e32 v43, v45, v43
	v_dual_fmamk_f32 v45, v126, 0xbe8c1d8e, v85 :: v_dual_add_f32 v42, v44, v42
	v_mul_f32_e32 v91, 0x3f763a35, v144
	v_dual_mul_f32 v76, 0xbe3c28d5, v161 :: v_dual_mul_f32 v79, 0xbe3c28d5, v144
	v_dual_add_f32 v2, v47, v2 :: v_dual_mul_f32 v115, 0x3eb8f4ab, v144
	v_fma_f32 v47, 0xbe8c1d8e, v127, -v91
	v_mul_f32_e32 v128, 0xbf65296c, v161
	s_delay_alu instid0(VALU_DEP_2)
	v_dual_add_f32 v38, v45, v38 :: v_dual_add_f32 v39, v47, v39
	v_fmamk_f32 v44, v126, 0xbf7ba420, v76
	v_fmamk_f32 v63, v126, 0x3f6eb680, v96
	v_fma_f32 v47, 0xbe8c1d8e, v133, -v65
	v_mul_f32_e32 v134, 0xbf65296c, v144
	v_fmamk_f32 v70, v132, 0xbf59a7d5, v73
	v_add_f32_e32 v36, v44, v36
	v_fma_f32 v44, 0xbf7ba420, v127, -v79
	v_dual_add_f32 v40, v63, v40 :: v_dual_mul_f32 v63, 0xbf763a35, v163
	v_mul_f32_e32 v113, 0xbf65296c, v163
	v_add_f32_e32 v3, v47, v3
	s_delay_alu instid0(VALU_DEP_4) | instskip(SKIP_4) | instid1(VALU_DEP_4)
	v_add_f32_e32 v37, v44, v37
	v_fma_f32 v44, 0x3f6eb680, v127, -v115
	v_dual_fmamk_f32 v45, v132, 0xbe8c1d8e, v63 :: v_dual_add_f32 v36, v70, v36
	v_fmamk_f32 v47, v132, 0x3ee437d1, v113
	v_mul_f32_e32 v125, 0xbf65296c, v149
	v_dual_add_f32 v41, v44, v41 :: v_dual_fmamk_f32 v44, v126, 0x3ee437d1, v128
	s_delay_alu instid0(VALU_DEP_4) | instskip(NEXT) | instid1(VALU_DEP_4)
	v_add_f32_e32 v2, v45, v2
	v_add_f32_e32 v40, v47, v40
	s_delay_alu instid0(VALU_DEP_4) | instskip(SKIP_3) | instid1(VALU_DEP_4)
	v_fma_f32 v70, 0x3ee437d1, v133, -v125
	v_fma_f32 v45, 0x3f3d2fb0, v133, -v102
	v_add_f32_e32 v42, v44, v42
	v_fma_f32 v44, 0x3ee437d1, v127, -v134
	v_add_f32_e32 v41, v70, v41
	s_delay_alu instid0(VALU_DEP_4) | instskip(NEXT) | instid1(VALU_DEP_3)
	v_add_f32_e32 v39, v45, v39
	v_add_f32_e32 v43, v44, v43
	v_fma_f32 v44, 0xbf59a7d5, v133, -v87
	s_delay_alu instid0(VALU_DEP_1) | instskip(SKIP_2) | instid1(VALU_DEP_2)
	v_add_f32_e32 v37, v44, v37
	v_fmamk_f32 v44, v132, 0x3f3d2fb0, v95
	v_mul_f32_e32 v74, 0xbf4c4adb, v156
	v_add_f32_e32 v38, v44, v38
	v_fmamk_f32 v44, v132, 0xbf7ba420, v138
	s_delay_alu instid0(VALU_DEP_3) | instskip(SKIP_1) | instid1(VALU_DEP_3)
	v_fma_f32 v47, 0xbf1a4643, v141, -v74
	v_mul_f32_e32 v70, 0xbf4c4adb, v165
	v_dual_mul_f32 v119, 0xbeb8f4ab, v156 :: v_dual_add_f32 v42, v44, v42
	v_fma_f32 v44, 0xbf7ba420, v133, -v145
	v_dual_add_f32 v140, v18, v28 :: v_dual_mul_f32 v123, 0xbf06c442, v165
	v_add_f32_e32 v3, v47, v3
	s_delay_alu instid0(VALU_DEP_3) | instskip(NEXT) | instid1(VALU_DEP_3)
	v_add_f32_e32 v43, v44, v43
	v_fmamk_f32 v47, v140, 0xbf59a7d5, v123
	s_delay_alu instid0(VALU_DEP_1) | instskip(NEXT) | instid1(VALU_DEP_1)
	v_dual_fmamk_f32 v45, v140, 0xbf1a4643, v70 :: v_dual_add_f32 v40, v47, v40
	v_add_f32_e32 v2, v45, v2
	v_fma_f32 v45, 0xbe8c1d8e, v141, -v97
	s_delay_alu instid0(VALU_DEP_1) | instskip(SKIP_2) | instid1(VALU_DEP_2)
	v_add_f32_e32 v37, v45, v37
	v_fma_f32 v45, 0x3f6eb680, v141, -v119
	v_mul_f32_e32 v82, 0x3f763a35, v165
	v_dual_mul_f32 v92, 0x3f65296c, v164 :: v_dual_add_f32 v39, v45, v39
	s_delay_alu instid0(VALU_DEP_2) | instskip(NEXT) | instid1(VALU_DEP_1)
	v_fmamk_f32 v44, v140, 0xbe8c1d8e, v82
	v_dual_fmamk_f32 v47, v147, 0x3ee437d1, v92 :: v_dual_add_f32 v36, v44, v36
	s_delay_alu instid0(VALU_DEP_1) | instskip(NEXT) | instid1(VALU_DEP_1)
	v_dual_fmamk_f32 v45, v140, 0x3dbcf732, v146 :: v_dual_add_f32 v36, v47, v36
	v_add_f32_e32 v42, v45, v42
	v_fma_f32 v45, 0xbf59a7d5, v148, -v84
	s_delay_alu instid0(VALU_DEP_1) | instskip(NEXT) | instid1(VALU_DEP_1)
	v_dual_fmamk_f32 v44, v140, 0x3f6eb680, v109 :: v_dual_add_f32 v3, v45, v3
	v_add_f32_e32 v38, v44, v38
	v_fma_f32 v44, 0xbf59a7d5, v141, -v135
	v_mul_f32_e32 v150, 0x3f7ee86f, v156
	v_fmamk_f32 v45, v147, 0x3dbcf732, v122
	v_mul_f32_e32 v137, 0x3f4c4adb, v164
	s_delay_alu instid0(VALU_DEP_4) | instskip(NEXT) | instid1(VALU_DEP_4)
	v_add_f32_e32 v41, v44, v41
	v_fma_f32 v44, 0x3dbcf732, v141, -v150
	s_delay_alu instid0(VALU_DEP_3) | instskip(SKIP_2) | instid1(VALU_DEP_4)
	v_dual_add_f32 v38, v45, v38 :: v_dual_fmamk_f32 v45, v147, 0xbf1a4643, v137
	v_mul_f32_e32 v116, 0x3f65296c, v159
	v_mul_f32_e32 v139, 0xbf06c442, v160
	v_dual_add_f32 v43, v44, v43 :: v_dual_fmamk_f32 v44, v147, 0xbf59a7d5, v81
	s_delay_alu instid0(VALU_DEP_4) | instskip(SKIP_1) | instid1(VALU_DEP_3)
	v_add_f32_e32 v45, v45, v40
	v_fma_f32 v40, 0x3f6eb680, v148, -v157
	v_add_f32_e32 v2, v44, v2
	v_fma_f32 v44, 0x3ee437d1, v148, -v116
	s_delay_alu instid0(VALU_DEP_3) | instskip(NEXT) | instid1(VALU_DEP_2)
	v_add_f32_e32 v162, v40, v43
	v_add_f32_e32 v37, v44, v37
	v_fma_f32 v44, 0x3dbcf732, v148, -v129
	s_delay_alu instid0(VALU_DEP_1) | instskip(SKIP_3) | instid1(VALU_DEP_4)
	v_dual_mul_f32 v110, 0x3eb8f4ab, v160 :: v_dual_add_f32 v39, v44, v39
	v_fmamk_f32 v44, v147, 0x3f6eb680, v154
	v_mul_f32_e32 v143, 0x3f4c4adb, v159
	v_mul_f32_e32 v158, 0xbf4c4adb, v160
	v_fma_f32 v43, 0x3f6eb680, v153, -v110
	s_delay_alu instid0(VALU_DEP_4) | instskip(NEXT) | instid1(VALU_DEP_4)
	v_add_f32_e32 v44, v44, v42
	v_fma_f32 v47, 0xbf1a4643, v148, -v143
	s_delay_alu instid0(VALU_DEP_4) | instskip(NEXT) | instid1(VALU_DEP_4)
	v_fma_f32 v169, 0xbf1a4643, v153, -v158
	v_add_f32_e32 v43, v43, v37
	v_fmamk_f32 v37, v152, 0x3f3d2fb0, v142
	s_delay_alu instid0(VALU_DEP_4) | instskip(SKIP_2) | instid1(VALU_DEP_2)
	v_add_f32_e32 v47, v47, v41
	v_fma_f32 v41, 0xbf7ba420, v153, -v93
	v_mul_f32_e32 v94, 0x3eb8f4ab, v166
	v_dual_fmamk_f32 v40, v152, 0xbf7ba420, v90 :: v_dual_add_f32 v3, v41, v3
	s_delay_alu instid0(VALU_DEP_2) | instskip(NEXT) | instid1(VALU_DEP_1)
	v_fmamk_f32 v42, v152, 0x3f6eb680, v94
	v_add_f32_e32 v42, v42, v36
	v_fma_f32 v36, 0xbf59a7d5, v153, -v139
	s_delay_alu instid0(VALU_DEP_1) | instskip(SKIP_3) | instid1(VALU_DEP_2)
	v_add_f32_e32 v41, v36, v39
	v_dual_add_f32 v39, v167, v47 :: v_dual_add_f32 v2, v40, v2
	v_fmamk_f32 v40, v152, 0xbf59a7d5, v131
	v_add_f32_e32 v36, v168, v44
	v_add_f32_e32 v40, v40, v38
	;; [unrolled: 1-line block ×4, first 2 shown]
	s_and_saveexec_b32 s0, vcc_lo
	s_cbranch_execz .LBB0_7
; %bb.6:
	v_mul_f32_e32 v167, 0xbf1a4643, v108
	v_dual_mul_f32 v189, 0x3f65296c, v48 :: v_dual_mul_f32 v190, 0x3f65296c, v166
	v_mul_f32_e32 v175, 0x3f763a35, v48
	v_mul_f32_e32 v168, 0xbe8c1d8e, v112
	s_delay_alu instid0(VALU_DEP_4) | instskip(NEXT) | instid1(VALU_DEP_4)
	v_fmamk_f32 v44, v114, 0x3f4c4adb, v167
	v_fmamk_f32 v191, v111, 0x3ee437d1, v189
	v_mul_f32_e32 v176, 0xbeb8f4ab, v49
	v_fmamk_f32 v195, v152, 0x3ee437d1, v190
	v_fmamk_f32 v45, v124, 0xbf763a35, v168
	v_add_f32_e32 v44, v44, v5
	s_delay_alu instid0(VALU_DEP_4) | instskip(SKIP_2) | instid1(VALU_DEP_3)
	v_dual_mul_f32 v169, 0x3f6eb680, v121 :: v_dual_fmamk_f32 v182, v120, 0x3f6eb680, v176
	v_mul_f32_e32 v174, 0xbf4c4adb, v46
	v_mul_f32_e32 v180, 0xbf2c7751, v165
	v_dual_add_f32 v44, v45, v44 :: v_dual_fmamk_f32 v47, v136, 0x3eb8f4ab, v169
	v_mul_f32_e32 v171, 0x3dbcf732, v133
	s_delay_alu instid0(VALU_DEP_4)
	v_fmamk_f32 v45, v98, 0xbf1a4643, v174
	v_mul_f32_e32 v170, 0xbf59a7d5, v127
	v_mul_f32_e32 v172, 0x3f3d2fb0, v141
	v_add_f32_e32 v44, v47, v44
	v_fmamk_f32 v47, v111, 0xbe8c1d8e, v175
	v_add_f32_e32 v45, v45, v4
	v_fmamk_f32 v179, v144, 0x3f06c442, v170
	v_fmamk_f32 v181, v149, 0xbf7ee86f, v171
	v_mul_f32_e32 v200, 0xbf7ba420, v108
	v_mul_f32_e32 v185, 0xbe3c28d5, v164
	v_add_f32_e32 v45, v47, v45
	v_dual_add_f32 v44, v179, v44 :: v_dual_fmamk_f32 v47, v156, 0x3f2c7751, v172
	s_delay_alu instid0(VALU_DEP_4) | instskip(SKIP_1) | instid1(VALU_DEP_3)
	v_fmamk_f32 v202, v114, 0x3e3c28d5, v200
	v_mul_f32_e32 v179, 0xbf59a7d5, v108
	v_dual_add_f32 v45, v182, v45 :: v_dual_add_f32 v44, v181, v44
	v_mul_f32_e32 v177, 0xbf06c442, v161
	v_mul_f32_e32 v192, 0xbf7ee86f, v49
	;; [unrolled: 1-line block ×3, first 2 shown]
	s_delay_alu instid0(VALU_DEP_4) | instskip(NEXT) | instid1(VALU_DEP_4)
	v_dual_mul_f32 v197, 0xbeb8f4ab, v163 :: v_dual_add_f32 v44, v47, v44
	v_fmamk_f32 v183, v126, 0xbf59a7d5, v177
	v_mul_f32_e32 v178, 0x3f7ee86f, v163
	v_add_f32_e32 v202, v202, v5
	v_fmamk_f32 v204, v124, 0xbeb8f4ab, v203
	v_mul_f32_e32 v193, 0x3f6eb680, v133
	v_add_f32_e32 v45, v183, v45
	v_fmamk_f32 v47, v132, 0x3dbcf732, v178
	v_mul_f32_e32 v183, 0x3dbcf732, v121
	v_mul_f32_e32 v199, 0xbe8c1d8e, v153
	;; [unrolled: 1-line block ×4, first 2 shown]
	v_add_f32_e32 v45, v47, v45
	v_fmamk_f32 v47, v140, 0x3f3d2fb0, v180
	v_fmamk_f32 v182, v114, 0x3f06c442, v179
	;; [unrolled: 1-line block ×3, first 2 shown]
	v_mul_f32_e32 v184, 0x3ee437d1, v112
	v_mul_f32_e32 v207, 0xbf06c442, v49
	v_add_f32_e32 v45, v47, v45
	v_dual_mul_f32 v173, 0xbf7ba420, v148 :: v_dual_add_f32 v182, v182, v5
	v_fmamk_f32 v47, v147, 0xbf7ba420, v185
	v_mul_f32_e32 v205, 0xbf59a7d5, v121
	v_fmac_f32_e32 v167, 0xbf4c4adb, v114
	s_delay_alu instid0(VALU_DEP_4) | instskip(NEXT) | instid1(VALU_DEP_4)
	v_fmamk_f32 v181, v159, 0x3e3c28d5, v173
	v_dual_fmac_f32 v168, 0x3f763a35, v124 :: v_dual_add_f32 v47, v47, v45
	v_fmac_f32_e32 v171, 0x3f7ee86f, v149
	s_delay_alu instid0(VALU_DEP_3) | instskip(SKIP_3) | instid1(VALU_DEP_4)
	v_dual_add_f32 v167, v167, v5 :: v_dual_add_f32 v44, v181, v44
	v_fmamk_f32 v181, v124, 0xbf65296c, v184
	v_mul_f32_e32 v162, 0x3ee437d1, v153
	v_fma_f32 v177, 0xbf59a7d5, v126, -v177
	v_add_f32_e32 v167, v168, v167
	v_fma_f32 v178, 0x3dbcf732, v132, -v178
	v_add_f32_e32 v181, v181, v182
	v_mul_f32_e32 v182, 0xbf06c442, v46
	v_fma_f32 v190, 0x3ee437d1, v152, -v190
	v_add_f32_e32 v6, v6, v4
	s_delay_alu instid0(VALU_DEP_4) | instskip(NEXT) | instid1(VALU_DEP_4)
	v_dual_mul_f32 v210, 0xbe8c1d8e, v148 :: v_dual_add_f32 v181, v186, v181
	v_fmamk_f32 v188, v98, 0xbf59a7d5, v182
	v_fmac_f32_e32 v179, 0xbf06c442, v114
	v_fmac_f32_e32 v184, 0x3f65296c, v124
	v_add_f32_e32 v6, v24, v6
	v_mul_f32_e32 v166, 0x3f7ee86f, v166
	v_add_f32_e32 v188, v188, v4
	v_mul_f32_e32 v168, 0x3dbcf732, v108
	v_fmac_f32_e32 v170, 0xbf06c442, v144
	v_add_f32_e32 v26, v26, v6
	v_fmac_f32_e32 v172, 0xbf2c7751, v156
	v_dual_add_f32 v45, v191, v188 :: v_dual_fmamk_f32 v188, v120, 0x3dbcf732, v192
	v_mul_f32_e32 v191, 0x3f4c4adb, v161
	v_mul_f32_e32 v187, 0xbf1a4643, v127
	;; [unrolled: 1-line block ×3, first 2 shown]
	v_fma_f32 v176, 0x3f6eb680, v120, -v176
	v_add_f32_e32 v188, v188, v45
	v_fmamk_f32 v196, v126, 0xbf1a4643, v191
	v_fmamk_f32 v186, v144, 0xbf4c4adb, v187
	;; [unrolled: 1-line block ×3, first 2 shown]
	v_fma_f32 v175, 0xbe8c1d8e, v111, -v175
	v_dual_fmac_f32 v169, 0xbeb8f4ab, v136 :: v_dual_add_f32 v26, v32, v26
	s_delay_alu instid0(VALU_DEP_4) | instskip(NEXT) | instid1(VALU_DEP_4)
	v_add_f32_e32 v181, v186, v181
	v_dual_add_f32 v45, v194, v44 :: v_dual_add_f32 v44, v195, v47
	v_add_f32_e32 v47, v196, v188
	v_fmamk_f32 v188, v132, 0x3f6eb680, v197
	v_fmamk_f32 v186, v149, 0x3eb8f4ab, v193
	v_mul_f32_e32 v194, 0xbe3c28d5, v165
	v_mul_f32_e32 v196, 0x3f2c7751, v164
	;; [unrolled: 1-line block ×3, first 2 shown]
	v_add_f32_e32 v47, v188, v47
	s_delay_alu instid0(VALU_DEP_4)
	v_dual_add_f32 v181, v186, v181 :: v_dual_fmamk_f32 v188, v140, 0xbf7ba420, v194
	v_fmamk_f32 v186, v156, 0x3e3c28d5, v198
	v_mul_f32_e32 v165, 0x3f65296c, v165
	v_fmac_f32_e32 v193, 0xbeb8f4ab, v149
	v_mul_f32_e32 v209, 0xbf4c4adb, v163
	v_dual_add_f32 v47, v188, v47 :: v_dual_fmamk_f32 v188, v147, 0x3f3d2fb0, v196
	v_dual_add_f32 v181, v186, v181 :: v_dual_fmamk_f32 v186, v159, 0xbf2c7751, v195
	v_mul_f32_e32 v208, 0x3ee437d1, v141
	v_fma_f32 v180, 0x3f3d2fb0, v140, -v180
	s_delay_alu instid0(VALU_DEP_4)
	v_add_f32_e32 v188, v188, v47
	v_fma_f32 v185, 0xbf7ba420, v147, -v185
	v_dual_add_f32 v181, v186, v181 :: v_dual_fmamk_f32 v186, v160, 0x3f763a35, v199
	v_add_f32_e32 v26, v34, v26
	v_add_f32_e32 v78, v78, v168
	v_dual_mul_f32 v168, 0xbf59a7d5, v147 :: v_dual_add_f32 v7, v7, v5
	s_delay_alu instid0(VALU_DEP_4) | instskip(SKIP_2) | instid1(VALU_DEP_4)
	v_add_f32_e32 v47, v186, v181
	v_fmamk_f32 v181, v152, 0xbe8c1d8e, v201
	v_mul_f32_e32 v186, 0xbe3c28d5, v46
	v_dual_add_f32 v78, v78, v5 :: v_dual_add_f32 v7, v25, v7
	s_delay_alu instid0(VALU_DEP_2) | instskip(SKIP_4) | instid1(VALU_DEP_4)
	v_dual_add_f32 v46, v181, v188 :: v_dual_fmamk_f32 v181, v98, 0xbf7ba420, v186
	v_mul_f32_e32 v188, 0x3eb8f4ab, v48
	v_add_f32_e32 v48, v204, v202
	v_mul_f32_e32 v204, 0x3f3d2fb0, v127
	v_add_f32_e32 v7, v27, v7
	v_dual_add_f32 v181, v181, v4 :: v_dual_fmamk_f32 v206, v111, 0x3f6eb680, v188
	v_fmac_f32_e32 v203, 0x3eb8f4ab, v124
	v_fmac_f32_e32 v183, 0xbf7ee86f, v136
	s_delay_alu instid0(VALU_DEP_4) | instskip(NEXT) | instid1(VALU_DEP_4)
	v_dual_mul_f32 v124, 0x3ee437d1, v98 :: v_dual_add_f32 v7, v33, v7
	v_dual_add_f32 v181, v206, v181 :: v_dual_fmamk_f32 v206, v120, 0xbf59a7d5, v207
	s_delay_alu instid0(VALU_DEP_2) | instskip(NEXT) | instid1(VALU_DEP_2)
	v_dual_sub_f32 v62, v124, v62 :: v_dual_add_f32 v7, v35, v7
	v_add_f32_e32 v181, v206, v181
	v_fmamk_f32 v206, v126, 0x3f3d2fb0, v161
	v_fmamk_f32 v202, v136, 0x3f06c442, v205
	v_fmac_f32_e32 v205, 0xbf06c442, v136
	v_fmac_f32_e32 v187, 0x3f4c4adb, v144
	s_delay_alu instid0(VALU_DEP_4) | instskip(NEXT) | instid1(VALU_DEP_4)
	v_dual_mul_f32 v136, 0xbe8c1d8e, v98 :: v_dual_add_f32 v163, v206, v181
	v_add_f32_e32 v48, v202, v48
	v_dual_mul_f32 v202, 0xbf1a4643, v133 :: v_dual_fmamk_f32 v181, v132, 0xbf1a4643, v209
	s_delay_alu instid0(VALU_DEP_3) | instskip(SKIP_1) | instid1(VALU_DEP_3)
	v_sub_f32_e32 v89, v136, v89
	v_add_f32_e32 v7, v29, v7
	v_add_f32_e32 v163, v181, v163
	v_fmamk_f32 v181, v140, 0x3ee437d1, v165
	v_fma_f32 v165, 0x3ee437d1, v140, -v165
	v_add_f32_e32 v89, v89, v4
	v_add_f32_e32 v7, v31, v7
	s_delay_alu instid0(VALU_DEP_4) | instskip(SKIP_2) | instid1(VALU_DEP_4)
	v_dual_add_f32 v163, v181, v163 :: v_dual_mul_f32 v206, 0xbf763a35, v164
	v_add_f32_e32 v164, v179, v5
	v_fma_f32 v181, 0x3ee437d1, v111, -v189
	v_add_f32_e32 v7, v21, v7
	s_delay_alu instid0(VALU_DEP_3) | instskip(SKIP_3) | instid1(VALU_DEP_4)
	v_dual_fmamk_f32 v179, v147, 0xbe8c1d8e, v206 :: v_dual_add_f32 v164, v184, v164
	v_fmamk_f32 v49, v144, 0xbf2c7751, v204
	v_fma_f32 v184, 0x3f6eb680, v111, -v188
	v_fma_f32 v161, 0x3f3d2fb0, v126, -v161
	v_add_f32_e32 v163, v179, v163
	v_add_f32_e32 v164, v183, v164
	;; [unrolled: 1-line block ×3, first 2 shown]
	v_fmamk_f32 v49, v149, 0x3f4c4adb, v202
	v_mul_f32_e32 v179, 0x3dbcf732, v153
	v_fma_f32 v183, 0xbf1a4643, v126, -v191
	v_add_f32_e32 v164, v187, v164
	v_fmac_f32_e32 v202, 0xbf4c4adb, v149
	v_dual_add_f32 v48, v49, v48 :: v_dual_fmamk_f32 v49, v156, 0xbf65296c, v208
	v_fmac_f32_e32 v199, 0xbf763a35, v160
	s_delay_alu instid0(VALU_DEP_4)
	v_add_f32_e32 v164, v193, v164
	v_fmac_f32_e32 v200, 0xbe3c28d5, v114
	v_mul_f32_e32 v114, 0x3f3d2fb0, v108
	v_dual_add_f32 v48, v49, v48 :: v_dual_fmamk_f32 v49, v159, 0x3f763a35, v210
	v_fmac_f32_e32 v210, 0xbf763a35, v159
	v_fmac_f32_e32 v208, 0x3f65296c, v156
	v_fma_f32 v189, 0xbe8c1d8e, v147, -v206
	v_mul_f32_e32 v149, 0xbf7ba420, v112
	v_add_f32_e32 v48, v49, v48
	v_fma_f32 v49, 0xbf59a7d5, v98, -v182
	v_mul_f32_e32 v188, 0x3f3d2fb0, v111
	v_mul_f32_e32 v191, 0x3f6eb680, v153
	v_dual_add_f32 v88, v88, v149 :: v_dual_mul_f32 v149, 0x3ee437d1, v147
	s_delay_alu instid0(VALU_DEP_4) | instskip(SKIP_2) | instid1(VALU_DEP_3)
	v_add_f32_e32 v49, v49, v4
	v_dual_fmac_f32 v195, 0x3f2c7751, v159 :: v_dual_fmac_f32 v204, 0x3f2c7751, v144
	v_mul_f32_e32 v144, 0x3dbcf732, v112
	v_dual_add_f32 v78, v88, v78 :: v_dual_add_f32 v49, v181, v49
	v_fma_f32 v181, 0x3dbcf732, v120, -v192
	v_fmamk_f32 v182, v160, 0xbf7ee86f, v179
	v_mul_f32_e32 v88, 0x3f6eb680, v147
	v_dual_mul_f32 v193, 0x3f3d2fb0, v152 :: v_dual_add_f32 v58, v58, v114
	v_sub_f32_e32 v27, v149, v92
	v_add_f32_e32 v181, v181, v49
	v_dual_add_f32 v49, v182, v48 :: v_dual_fmamk_f32 v48, v152, 0x3dbcf732, v166
	v_fmac_f32_e32 v198, 0xbe3c28d5, v156
	v_fma_f32 v182, 0x3f6eb680, v132, -v197
	s_delay_alu instid0(VALU_DEP_4) | instskip(SKIP_1) | instid1(VALU_DEP_4)
	v_add_f32_e32 v181, v183, v181
	v_fma_f32 v183, 0xbf7ba420, v98, -v186
	v_dual_add_f32 v48, v48, v163 :: v_dual_add_f32 v163, v198, v164
	v_fma_f32 v186, 0xbe8c1d8e, v152, -v201
	s_delay_alu instid0(VALU_DEP_4) | instskip(SKIP_3) | instid1(VALU_DEP_3)
	v_add_f32_e32 v164, v182, v181
	v_fma_f32 v181, 0xbf7ba420, v140, -v194
	v_dual_add_f32 v183, v183, v4 :: v_dual_add_f32 v182, v200, v5
	v_dual_add_f32 v163, v195, v163 :: v_dual_sub_f32 v88, v88, v154
	v_add_f32_e32 v164, v181, v164
	v_fma_f32 v181, 0x3f3d2fb0, v147, -v196
	s_delay_alu instid0(VALU_DEP_4) | instskip(SKIP_4) | instid1(VALU_DEP_3)
	v_add_f32_e32 v183, v184, v183
	v_fma_f32 v184, 0xbf59a7d5, v120, -v207
	v_add_f32_e32 v182, v203, v182
	v_fma_f32 v166, 0x3dbcf732, v152, -v166
	v_dual_add_f32 v181, v181, v164 :: v_dual_add_f32 v164, v199, v163
	v_dual_add_f32 v183, v184, v183 :: v_dual_add_f32 v182, v205, v182
	s_delay_alu instid0(VALU_DEP_2) | instskip(SKIP_1) | instid1(VALU_DEP_3)
	v_dual_mul_f32 v184, 0x3f6eb680, v108 :: v_dual_add_f32 v163, v186, v181
	v_fma_f32 v186, 0xbf1a4643, v132, -v209
	v_dual_add_f32 v161, v161, v183 :: v_dual_add_f32 v182, v204, v182
	v_mul_f32_e32 v181, 0x3f6eb680, v98
	v_dual_mul_f32 v183, 0x3f3d2fb0, v98 :: v_dual_add_f32 v58, v58, v5
	s_delay_alu instid0(VALU_DEP_3) | instskip(SKIP_1) | instid1(VALU_DEP_3)
	v_dual_add_f32 v161, v186, v161 :: v_dual_mul_f32 v186, 0x3dbcf732, v98
	v_fma_f32 v98, 0xbf1a4643, v98, -v174
	v_dual_add_f32 v182, v202, v182 :: v_dual_sub_f32 v57, v183, v57
	s_delay_alu instid0(VALU_DEP_3) | instskip(NEXT) | instid1(VALU_DEP_3)
	v_dual_add_f32 v161, v165, v161 :: v_dual_mul_f32 v174, 0xbf1a4643, v111
	v_add_f32_e32 v98, v98, v4
	s_delay_alu instid0(VALU_DEP_3) | instskip(NEXT) | instid1(VALU_DEP_3)
	v_dual_add_f32 v182, v208, v182 :: v_dual_mul_f32 v187, 0x3ee437d1, v108
	v_dual_mul_f32 v108, 0xbe8c1d8e, v108 :: v_dual_add_f32 v161, v189, v161
	s_delay_alu instid0(VALU_DEP_3) | instskip(NEXT) | instid1(VALU_DEP_3)
	v_add_f32_e32 v98, v175, v98
	v_dual_add_f32 v182, v210, v182 :: v_dual_add_f32 v167, v169, v167
	v_mul_f32_e32 v165, 0x3f3d2fb0, v112
	v_mul_f32_e32 v189, 0xbf1a4643, v112
	;; [unrolled: 1-line block ×3, first 2 shown]
	v_add_f32_e32 v98, v176, v98
	v_dual_mul_f32 v176, 0xbf1a4643, v121 :: v_dual_add_f32 v167, v170, v167
	v_mul_f32_e32 v170, 0xbf7ba420, v111
	s_delay_alu instid0(VALU_DEP_3) | instskip(SKIP_1) | instid1(VALU_DEP_4)
	v_dual_mul_f32 v169, 0x3dbcf732, v111 :: v_dual_add_f32 v98, v177, v98
	v_add_f32_e32 v100, v100, v108
	v_dual_add_f32 v112, v118, v112 :: v_dual_add_f32 v167, v171, v167
	v_mul_f32_e32 v111, 0xbf59a7d5, v111
	s_delay_alu instid0(VALU_DEP_4) | instskip(NEXT) | instid1(VALU_DEP_3)
	v_dual_mul_f32 v175, 0x3ee437d1, v120 :: v_dual_add_f32 v98, v178, v98
	v_dual_mul_f32 v156, 0xbf1a4643, v120 :: v_dual_add_f32 v167, v172, v167
	v_mul_f32_e32 v172, 0xbf7ba420, v120
	s_delay_alu instid0(VALU_DEP_3)
	v_dual_fmac_f32 v173, 0xbe3c28d5, v159 :: v_dual_add_f32 v98, v180, v98
	v_mul_f32_e32 v159, 0xbf7ba420, v121
	v_dual_mul_f32 v177, 0xbe8c1d8e, v120 :: v_dual_mul_f32 v108, 0xbe8c1d8e, v121
	v_mul_f32_e32 v120, 0x3f3d2fb0, v120
	v_add_f32_e32 v100, v100, v5
	v_mul_f32_e32 v171, 0x3ee437d1, v121
	v_mul_f32_e32 v121, 0x3f3d2fb0, v121
	v_mul_f32_e32 v178, 0xbf7ba420, v126
	v_dual_mul_f32 v118, 0x3dbcf732, v126 :: v_dual_add_f32 v167, v173, v167
	v_add_f32_e32 v100, v112, v100
	s_delay_alu instid0(VALU_DEP_4)
	v_dual_mul_f32 v112, 0xbf7ba420, v127 :: v_dual_add_f32 v121, v130, v121
	v_mul_f32_e32 v173, 0x3dbcf732, v127
	v_dual_fmac_f32 v179, 0x3f7ee86f, v160 :: v_dual_add_f32 v98, v185, v98
	v_dual_fmac_f32 v162, 0x3f65296c, v160 :: v_dual_sub_f32 v101, v111, v101
	v_mul_f32_e32 v160, 0xbe8c1d8e, v127
	v_mul_f32_e32 v180, 0x3f6eb680, v126
	v_dual_add_f32 v100, v121, v100 :: v_dual_mul_f32 v121, 0x3f6eb680, v127
	v_mul_f32_e32 v127, 0x3ee437d1, v127
	v_mul_f32_e32 v130, 0xbe8c1d8e, v126
	;; [unrolled: 1-line block ×3, first 2 shown]
	v_dual_mul_f32 v136, 0xbe8c1d8e, v132 :: v_dual_add_f32 v89, v101, v89
	s_delay_alu instid0(VALU_DEP_4) | instskip(NEXT) | instid1(VALU_DEP_3)
	v_add_f32_e32 v127, v134, v127
	v_dual_sub_f32 v117, v120, v117 :: v_dual_sub_f32 v126, v126, v128
	v_mul_f32_e32 v185, 0xbf59a7d5, v133
	v_mul_f32_e32 v111, 0xbf59a7d5, v132
	s_delay_alu instid0(VALU_DEP_4) | instskip(NEXT) | instid1(VALU_DEP_4)
	v_dual_add_f32 v100, v127, v100 :: v_dual_mul_f32 v127, 0xbf7ba420, v133
	v_dual_add_f32 v89, v117, v89 :: v_dual_mul_f32 v128, 0xbf1a4643, v140
	v_mul_f32_e32 v134, 0xbe8c1d8e, v133
	v_dual_mul_f32 v101, 0x3f3d2fb0, v132 :: v_dual_mul_f32 v120, 0x3f3d2fb0, v133
	s_delay_alu instid0(VALU_DEP_4) | instskip(NEXT) | instid1(VALU_DEP_4)
	v_add_f32_e32 v127, v145, v127
	v_dual_add_f32 v89, v126, v89 :: v_dual_mul_f32 v126, 0x3f6eb680, v148
	v_mul_f32_e32 v145, 0x3ee437d1, v132
	v_mul_f32_e32 v132, 0xbf7ba420, v132
	;; [unrolled: 1-line block ×3, first 2 shown]
	v_dual_mul_f32 v133, 0x3ee437d1, v133 :: v_dual_add_f32 v100, v127, v100
	v_add_f32_e32 v126, v157, v126
	s_delay_alu instid0(VALU_DEP_4) | instskip(SKIP_2) | instid1(VALU_DEP_3)
	v_dual_sub_f32 v132, v132, v138 :: v_dual_mul_f32 v157, 0x3f6eb680, v141
	v_dual_mul_f32 v138, 0xbe8c1d8e, v141 :: v_dual_add_f32 v99, v99, v108
	v_add_f32_e32 v115, v115, v121
	v_dual_add_f32 v89, v132, v89 :: v_dual_mul_f32 v132, 0x3dbcf732, v140
	v_dual_add_f32 v117, v150, v117 :: v_dual_mul_f32 v150, 0xbe8c1d8e, v140
	s_delay_alu instid0(VALU_DEP_4) | instskip(NEXT) | instid1(VALU_DEP_3)
	v_dual_mul_f32 v127, 0xbf1a4643, v141 :: v_dual_add_f32 v78, v99, v78
	v_sub_f32_e32 v132, v132, v146
	s_delay_alu instid0(VALU_DEP_3) | instskip(SKIP_2) | instid1(VALU_DEP_4)
	v_add_f32_e32 v100, v117, v100
	v_mul_f32_e32 v117, 0x3f6eb680, v140
	v_mul_f32_e32 v140, 0xbf59a7d5, v140
	v_dual_mul_f32 v146, 0xbf59a7d5, v148 :: v_dual_add_f32 v89, v132, v89
	s_delay_alu instid0(VALU_DEP_4)
	v_add_f32_e32 v100, v126, v100
	v_dual_mul_f32 v132, 0x3dbcf732, v147 :: v_dual_add_f32 v125, v125, v133
	v_mul_f32_e32 v133, 0xbf59a7d5, v153
	v_dual_mul_f32 v126, 0x3ee437d1, v148 :: v_dual_add_f32 v115, v115, v78
	v_add_f32_e32 v66, v66, v187
	v_add_f32_e32 v62, v62, v4
	v_sub_f32_e32 v68, v174, v68
	v_mul_f32_e32 v108, 0x3dbcf732, v148
	v_dual_mul_f32 v148, 0xbf1a4643, v148 :: v_dual_add_f32 v115, v125, v115
	v_mul_f32_e32 v154, 0xbf1a4643, v153
	v_dual_mul_f32 v192, 0xbf59a7d5, v152 :: v_dual_add_f32 v75, v75, v189
	v_add_f32_e32 v62, v68, v62
	v_sub_f32_e32 v68, v172, v77
	v_add_f32_e32 v77, v119, v157
	v_add_f32_e32 v66, v66, v5
	v_mul_f32_e32 v141, 0xbf59a7d5, v141
	v_dual_mul_f32 v99, 0xbf7ba420, v152 :: v_dual_add_f32 v154, v158, v154
	v_mul_f32_e32 v158, 0x3f6eb680, v152
	s_delay_alu instid0(VALU_DEP_4) | instskip(SKIP_3) | instid1(VALU_DEP_3)
	v_dual_sub_f32 v186, v186, v69 :: v_dual_add_f32 v75, v75, v66
	v_dual_mul_f32 v152, 0xbf1a4643, v152 :: v_dual_add_f32 v83, v83, v159
	v_mul_f32_e32 v121, 0xbf7ba420, v153
	v_dual_add_f32 v88, v88, v89 :: v_dual_add_f32 v89, v154, v100
	v_sub_f32_e32 v100, v152, v155
	s_delay_alu instid0(VALU_DEP_4)
	v_dual_add_f32 v152, v186, v4 :: v_dual_add_f32 v75, v83, v75
	v_add_f32_e32 v83, v91, v160
	v_sub_f32_e32 v80, v170, v80
	v_sub_f32_e32 v86, v177, v86
	v_add_f32_e32 v69, v179, v182
	v_sub_f32_e32 v67, v156, v67
	v_add_f32_e32 v75, v83, v75
	v_add_f32_e32 v83, v102, v120
	v_add_f32_e32 v88, v100, v88
	v_add_f32_e32 v62, v68, v62
	v_dual_add_f32 v64, v64, v144 :: v_dual_add_f32 v125, v135, v141
	s_delay_alu instid0(VALU_DEP_4) | instskip(SKIP_1) | instid1(VALU_DEP_3)
	v_dual_add_f32 v75, v83, v75 :: v_dual_add_f32 v80, v80, v152
	v_sub_f32_e32 v83, v193, v142
	v_add_f32_e32 v58, v64, v58
	s_delay_alu instid0(VALU_DEP_3) | instskip(NEXT) | instid1(VALU_DEP_4)
	v_dual_add_f32 v64, v71, v176 :: v_dual_add_f32 v75, v77, v75
	v_add_f32_e32 v80, v86, v80
	v_add_f32_e32 v77, v129, v108
	v_dual_sub_f32 v86, v180, v96 :: v_dual_mul_f32 v153, 0x3f3d2fb0, v153
	v_add_f32_e32 v78, v162, v167
	v_dual_add_f32 v100, v125, v115 :: v_dual_add_f32 v71, v139, v133
	s_delay_alu instid0(VALU_DEP_3) | instskip(SKIP_4) | instid1(VALU_DEP_4)
	v_dual_add_f32 v75, v77, v75 :: v_dual_add_f32 v80, v86, v80
	v_dual_sub_f32 v86, v145, v113 :: v_dual_add_f32 v115, v143, v148
	v_add_f32_e32 v58, v64, v58
	v_add_f32_e32 v64, v79, v112
	;; [unrolled: 1-line block ×3, first 2 shown]
	v_dual_add_f32 v80, v86, v80 :: v_dual_add_f32 v77, v97, v138
	v_sub_f32_e32 v86, v140, v123
	v_dual_add_f32 v96, v115, v100 :: v_dual_sub_f32 v61, v169, v61
	v_add_f32_e32 v100, v151, v153
	v_add_f32_e32 v58, v64, v58
	;; [unrolled: 1-line block ×3, first 2 shown]
	s_delay_alu instid0(VALU_DEP_4) | instskip(NEXT) | instid1(VALU_DEP_4)
	v_dual_add_f32 v24, v110, v191 :: v_dual_add_f32 v61, v61, v57
	v_add_f32_e32 v66, v100, v96
	v_sub_f32_e32 v68, v130, v85
	s_delay_alu instid0(VALU_DEP_4) | instskip(NEXT) | instid1(VALU_DEP_4)
	v_dual_add_f32 v64, v64, v58 :: v_dual_sub_f32 v21, v175, v55
	v_add_f32_e32 v61, v67, v61
	v_add_f32_e32 v67, v116, v126
	s_delay_alu instid0(VALU_DEP_4) | instskip(NEXT) | instid1(VALU_DEP_4)
	v_add_f32_e32 v62, v68, v62
	v_add_f32_e32 v64, v77, v64
	v_dual_sub_f32 v68, v101, v95 :: v_dual_add_f32 v77, v190, v98
	v_add_f32_e32 v7, v23, v7
	s_delay_alu instid0(VALU_DEP_3) | instskip(SKIP_1) | instid1(VALU_DEP_3)
	v_dual_mul_f32 v147, 0xbf1a4643, v147 :: v_dual_add_f32 v64, v67, v64
	v_add_f32_e32 v58, v71, v75
	v_add_f32_e32 v7, v17, v7
	s_delay_alu instid0(VALU_DEP_3) | instskip(SKIP_1) | instid1(VALU_DEP_3)
	v_dual_add_f32 v17, v74, v127 :: v_dual_add_f32 v6, v24, v64
	v_add_f32_e32 v24, v51, v184
	v_add_f32_e32 v7, v19, v7
	s_delay_alu instid0(VALU_DEP_2) | instskip(NEXT) | instid1(VALU_DEP_2)
	v_add_f32_e32 v5, v24, v5
	v_dual_add_f32 v24, v54, v165 :: v_dual_add_f32 v7, v13, v7
	v_sub_f32_e32 v13, v128, v70
	s_delay_alu instid0(VALU_DEP_2) | instskip(SKIP_4) | instid1(VALU_DEP_4)
	v_add_f32_e32 v5, v24, v5
	v_add_f32_e32 v24, v28, v26
	;; [unrolled: 1-line block ×4, first 2 shown]
	v_dual_sub_f32 v68, v117, v109 :: v_dual_add_f32 v7, v15, v7
	v_add_f32_e32 v24, v30, v24
	s_delay_alu instid0(VALU_DEP_4) | instskip(SKIP_1) | instid1(VALU_DEP_4)
	v_add_f32_e32 v5, v26, v5
	v_add_f32_e32 v26, v60, v173
	;; [unrolled: 1-line block ×3, first 2 shown]
	v_sub_f32_e32 v68, v132, v122
	v_add_f32_e32 v20, v20, v24
	s_delay_alu instid0(VALU_DEP_4) | instskip(NEXT) | instid1(VALU_DEP_3)
	v_dual_add_f32 v24, v65, v134 :: v_dual_add_f32 v5, v26, v5
	v_dual_add_f32 v7, v9, v7 :: v_dual_add_f32 v62, v68, v62
	s_delay_alu instid0(VALU_DEP_3) | instskip(SKIP_1) | instid1(VALU_DEP_4)
	v_add_f32_e32 v20, v22, v20
	v_mul_lo_u16 v9, v106, 17
	v_add_f32_e32 v5, v24, v5
	v_sub_f32_e32 v68, v192, v131
	s_delay_alu instid0(VALU_DEP_4) | instskip(NEXT) | instid1(VALU_DEP_3)
	v_dual_add_f32 v11, v11, v7 :: v_dual_add_f32 v16, v16, v20
	v_dual_sub_f32 v20, v136, v63 :: v_dual_add_f32 v5, v17, v5
	s_delay_alu instid0(VALU_DEP_3) | instskip(SKIP_3) | instid1(VALU_DEP_3)
	v_dual_add_f32 v80, v86, v80 :: v_dual_add_f32 v57, v68, v62
	v_dual_sub_f32 v62, v178, v76 :: v_dual_add_f32 v17, v84, v146
	v_sub_f32_e32 v86, v147, v137
	v_dual_add_f32 v16, v18, v16 :: v_dual_and_b32 v9, 0xffff, v9
	v_add_f32_e32 v61, v62, v61
	v_sub_f32_e32 v62, v111, v73
	s_delay_alu instid0(VALU_DEP_3) | instskip(SKIP_1) | instid1(VALU_DEP_3)
	v_dual_add_f32 v5, v17, v5 :: v_dual_add_f32 v12, v12, v16
	v_dual_sub_f32 v16, v158, v94 :: v_dual_add_f32 v1, v1, v11
	v_add_f32_e32 v25, v62, v61
	v_sub_f32_e32 v61, v150, v82
	v_add_f32_e32 v80, v86, v80
	v_add_f32_e32 v12, v14, v12
	v_add_f32_e32 v14, v93, v121
	v_add_f32_e32 v68, v166, v161
	v_add_f32_e32 v25, v61, v25
	v_add_f32_e32 v65, v83, v80
	v_add_f32_e32 v8, v8, v12
	v_sub_f32_e32 v12, v99, v90
	s_delay_alu instid0(VALU_DEP_4) | instskip(NEXT) | instid1(VALU_DEP_3)
	v_add_f32_e32 v25, v27, v25
	v_dual_sub_f32 v27, v181, v50 :: v_dual_add_f32 v10, v10, v8
	v_add_f32_e32 v8, v14, v5
	s_delay_alu instid0(VALU_DEP_2) | instskip(SKIP_1) | instid1(VALU_DEP_4)
	v_dual_add_f32 v5, v16, v25 :: v_dual_add_f32 v4, v27, v4
	v_sub_f32_e32 v27, v188, v53
	v_add_f32_e32 v0, v0, v10
	s_delay_alu instid0(VALU_DEP_2) | instskip(NEXT) | instid1(VALU_DEP_1)
	v_add_f32_e32 v4, v27, v4
	v_dual_add_f32 v4, v21, v4 :: v_dual_sub_f32 v21, v118, v59
	s_delay_alu instid0(VALU_DEP_1) | instskip(NEXT) | instid1(VALU_DEP_1)
	v_add_f32_e32 v4, v21, v4
	v_add_f32_e32 v4, v20, v4
	s_delay_alu instid0(VALU_DEP_1) | instskip(NEXT) | instid1(VALU_DEP_1)
	v_dual_add_f32 v4, v13, v4 :: v_dual_sub_f32 v13, v168, v81
	v_add_f32_e32 v4, v13, v4
	s_delay_alu instid0(VALU_DEP_1)
	v_add_f32_e32 v7, v12, v4
	v_add_lshl_u32 v4, v52, v9, 3
	ds_store_2addr_b64 v4, v[0:1], v[7:8] offset1:1
	ds_store_2addr_b64 v4, v[5:6], v[57:58] offset0:2 offset1:3
	ds_store_2addr_b64 v4, v[65:66], v[88:89] offset0:4 offset1:5
	;; [unrolled: 1-line block ×7, first 2 shown]
	ds_store_b64 v4, v[2:3] offset:128
.LBB0_7:
	s_wait_alu 0xfffe
	s_or_b32 exec_lo, exec_lo, s0
	v_add_lshl_u32 v108, v52, v106, 3
	global_wb scope:SCOPE_SE
	s_wait_dscnt 0x0
	s_barrier_signal -1
	s_barrier_wait -1
	global_inv scope:SCOPE_SE
	v_add_nc_u32_e32 v0, 0xc00, v108
	v_add_nc_u32_e32 v1, 0x1000, v108
	;; [unrolled: 1-line block ×4, first 2 shown]
	ds_load_2addr_b64 v[20:23], v108 offset1:68
	ds_load_2addr_b64 v[24:27], v108 offset0:136 offset1:238
	ds_load_2addr_b64 v[48:51], v0 offset0:92 offset1:160
	;; [unrolled: 1-line block ×5, first 2 shown]
	v_cmp_gt_u16_e64 s0, 34, v106
	s_delay_alu instid0(VALU_DEP_1)
	s_and_saveexec_b32 s1, s0
	s_cbranch_execz .LBB0_9
; %bb.8:
	v_add_nc_u32_e32 v0, 0x600, v108
	v_add_nc_u32_e32 v1, 0x1500, v108
	ds_load_2addr_b64 v[36:39], v0 offset0:12 offset1:250
	ds_load_2addr_b64 v[40:43], v1 offset0:8 offset1:246
.LBB0_9:
	s_wait_alu 0xfffe
	s_or_b32 exec_lo, exec_lo, s1
	v_and_b32_e32 v0, 0xff, v106
	v_add_nc_u16 v4, v106, 0x44
	v_add_nc_u16 v53, v106, 0x88
	;; [unrolled: 1-line block ×3, first 2 shown]
	s_delay_alu instid0(VALU_DEP_4) | instskip(NEXT) | instid1(VALU_DEP_1)
	v_mul_lo_u16 v0, 0xf1, v0
	v_lshrrev_b16 v57, 12, v0
	v_and_b32_e32 v0, 0xff, v4
	s_delay_alu instid0(VALU_DEP_2) | instskip(NEXT) | instid1(VALU_DEP_2)
	v_mul_lo_u16 v1, v57, 17
	v_mul_lo_u16 v0, 0xf1, v0
	s_delay_alu instid0(VALU_DEP_2) | instskip(NEXT) | instid1(VALU_DEP_2)
	v_sub_nc_u16 v1, v106, v1
	v_lshrrev_b16 v58, 12, v0
	s_delay_alu instid0(VALU_DEP_2) | instskip(NEXT) | instid1(VALU_DEP_1)
	v_and_b32_e32 v60, 0xff, v1
	v_mad_co_u64_u32 v[0:1], null, v60, 24, s[2:3]
	s_clause 0x1
	global_load_b128 v[16:19], v[0:1], off
	global_load_b64 v[79:80], v[0:1], off offset:16
	v_and_b32_e32 v56, 0xff, v53
	v_and_b32_e32 v5, 0xffff, v54
	s_delay_alu instid0(VALU_DEP_2) | instskip(NEXT) | instid1(VALU_DEP_2)
	v_mul_lo_u16 v6, 0xf1, v56
	v_mul_u32_u24_e32 v55, 0xf0f1, v5
	v_mul_lo_u16 v5, v58, 17
	s_delay_alu instid0(VALU_DEP_3) | instskip(NEXT) | instid1(VALU_DEP_3)
	v_lshrrev_b16 v59, 12, v6
	v_lshrrev_b32_e32 v61, 20, v55
	s_delay_alu instid0(VALU_DEP_3) | instskip(NEXT) | instid1(VALU_DEP_3)
	v_sub_nc_u16 v4, v4, v5
	v_mul_lo_u16 v6, v59, 17
	s_delay_alu instid0(VALU_DEP_3) | instskip(NEXT) | instid1(VALU_DEP_3)
	v_mul_lo_u16 v7, v61, 17
	v_and_b32_e32 v63, 0xff, v4
	s_delay_alu instid0(VALU_DEP_3) | instskip(NEXT) | instid1(VALU_DEP_3)
	v_sub_nc_u16 v5, v53, v6
	v_sub_nc_u16 v62, v54, v7
	s_delay_alu instid0(VALU_DEP_3) | instskip(NEXT) | instid1(VALU_DEP_3)
	v_mad_co_u64_u32 v[0:1], null, v63, 24, s[2:3]
	v_and_b32_e32 v64, 0xff, v5
	s_delay_alu instid0(VALU_DEP_3) | instskip(SKIP_1) | instid1(VALU_DEP_3)
	v_mul_lo_u16 v6, v62, 24
	v_mad_u16 v110, 0x44, v61, v62
	v_mad_co_u64_u32 v[4:5], null, v64, 24, s[2:3]
	s_clause 0x2
	global_load_b128 v[12:15], v[0:1], off
	global_load_b64 v[77:78], v[0:1], off offset:16
	global_load_b128 v[8:11], v[4:5], off
	v_and_b32_e32 v6, 0xffff, v6
	s_delay_alu instid0(VALU_DEP_1)
	v_add_co_u32 v0, s1, s2, v6
	s_wait_alu 0xf1ff
	v_add_co_ci_u32_e64 v1, null, s3, 0, s1
	s_clause 0x2
	global_load_b64 v[75:76], v[4:5], off offset:16
	global_load_b128 v[4:7], v[0:1], off
	global_load_b64 v[73:74], v[0:1], off offset:16
	v_and_b32_e32 v1, 0xffff, v58
	v_and_b32_e32 v0, 0xffff, v57
	s_load_b128 s[4:7], s[4:5], 0x0
	global_wb scope:SCOPE_SE
	s_wait_loadcnt_dscnt 0x0
	s_wait_kmcnt 0x0
	s_barrier_signal -1
	v_mul_u32_u24_e32 v1, 0x44, v1
	v_mul_u32_u24_e32 v0, 0x44, v0
	s_barrier_wait -1
	global_inv scope:SCOPE_SE
	v_mul_f32_e32 v58, v48, v19
	v_add_nc_u32_e32 v1, v1, v63
	v_and_b32_e32 v57, 0xffff, v59
	s_delay_alu instid0(VALU_DEP_3) | instskip(NEXT) | instid1(VALU_DEP_3)
	v_dual_mul_f32 v59, v31, v80 :: v_dual_fmac_f32 v58, v49, v18
	v_add_lshl_u32 v112, v52, v1, 3
	v_mul_f32_e32 v1, v26, v17
	s_delay_alu instid0(VALU_DEP_4) | instskip(NEXT) | instid1(VALU_DEP_2)
	v_mul_u32_u24_e32 v57, 0x44, v57
	v_fmac_f32_e32 v1, v27, v16
	v_add_nc_u32_e32 v0, v0, v60
	v_mul_f32_e32 v60, v30, v80
	s_delay_alu instid0(VALU_DEP_1)
	v_fmac_f32_e32 v60, v31, v79
	v_mul_f32_e32 v31, v51, v15
	v_dual_mul_f32 v62, v46, v9 :: v_dual_add_nc_u32 v57, v57, v64
	v_mul_f32_e32 v61, v47, v9
	v_add_lshl_u32 v113, v52, v0, 3
	v_mul_f32_e32 v0, v27, v17
	s_delay_alu instid0(VALU_DEP_4)
	v_add_lshl_u32 v111, v52, v57, 3
	v_mul_f32_e32 v57, v49, v19
	v_fma_f32 v27, v30, v79, -v59
	v_mul_f32_e32 v30, v45, v13
	v_fma_f32 v0, v26, v16, -v0
	v_mul_f32_e32 v49, v50, v15
	v_mul_f32_e32 v65, v35, v76
	v_fma_f32 v26, v48, v18, -v57
	v_dual_mul_f32 v48, v44, v13 :: v_dual_mul_f32 v57, v33, v78
	v_mul_f32_e32 v59, v32, v78
	v_dual_mul_f32 v63, v29, v11 :: v_dual_mul_f32 v66, v34, v76
	v_dual_mul_f32 v64, v28, v11 :: v_dual_mul_f32 v67, v39, v5
	v_dual_mul_f32 v68, v38, v5 :: v_dual_mul_f32 v69, v41, v7
	v_dual_mul_f32 v70, v40, v7 :: v_dual_mul_f32 v71, v43, v74
	v_dual_mul_f32 v81, v42, v74 :: v_dual_fmac_f32 v48, v45, v12
	v_fma_f32 v44, v44, v12, -v30
	v_fma_f32 v30, v50, v14, -v31
	v_fmac_f32_e32 v49, v51, v14
	v_fma_f32 v31, v32, v77, -v57
	v_dual_fmac_f32 v59, v33, v77 :: v_dual_fmac_f32 v62, v47, v8
	v_fma_f32 v45, v46, v8, -v61
	v_fma_f32 v28, v28, v10, -v63
	v_dual_fmac_f32 v64, v29, v10 :: v_dual_sub_f32 v27, v0, v27
	v_fma_f32 v29, v34, v75, -v65
	v_dual_fmac_f32 v66, v35, v75 :: v_dual_sub_f32 v33, v21, v58
	v_dual_sub_f32 v32, v20, v26 :: v_dual_fmac_f32 v81, v43, v73
	v_sub_f32_e32 v26, v1, v60
	v_fma_f32 v34, v38, v4, -v67
	v_fmac_f32_e32 v68, v39, v4
	v_fma_f32 v35, v40, v6, -v69
	v_dual_fmac_f32 v70, v41, v6 :: v_dual_sub_f32 v43, v44, v31
	v_fma_f32 v38, v42, v73, -v71
	v_dual_sub_f32 v41, v22, v30 :: v_dual_sub_f32 v42, v23, v49
	v_dual_sub_f32 v46, v48, v59 :: v_dual_sub_f32 v51, v62, v66
	v_fma_f32 v39, v20, 2.0, -v32
	v_fma_f32 v40, v21, 2.0, -v33
	;; [unrolled: 1-line block ×4, first 2 shown]
	v_dual_sub_f32 v26, v32, v26 :: v_dual_sub_f32 v49, v25, v64
	v_add_f32_e32 v27, v33, v27
	v_dual_sub_f32 v47, v24, v28 :: v_dual_sub_f32 v50, v45, v29
	v_dual_sub_f32 v20, v36, v35 :: v_dual_sub_f32 v21, v37, v70
	;; [unrolled: 1-line block ×3, first 2 shown]
	v_fma_f32 v57, v22, 2.0, -v41
	v_fma_f32 v58, v23, 2.0, -v42
	;; [unrolled: 1-line block ×4, first 2 shown]
	v_dual_sub_f32 v28, v39, v0 :: v_dual_sub_f32 v29, v40, v1
	v_fma_f32 v30, v32, 2.0, -v26
	v_fma_f32 v31, v33, 2.0, -v27
	v_dual_sub_f32 v32, v41, v46 :: v_dual_add_f32 v33, v42, v43
	v_fma_f32 v59, v24, 2.0, -v47
	v_fma_f32 v60, v25, 2.0, -v49
	;; [unrolled: 1-line block ×4, first 2 shown]
	v_dual_sub_f32 v24, v47, v51 :: v_dual_add_f32 v25, v49, v50
	v_fma_f32 v22, v36, 2.0, -v20
	v_fma_f32 v23, v37, 2.0, -v21
	;; [unrolled: 1-line block ×4, first 2 shown]
	v_sub_f32_e32 v36, v57, v44
	v_dual_sub_f32 v37, v58, v48 :: v_dual_sub_f32 v0, v20, v38
	v_add_f32_e32 v1, v21, v35
	v_fma_f32 v35, v40, 2.0, -v29
	v_fma_f32 v38, v41, 2.0, -v32
	v_dual_sub_f32 v40, v59, v43 :: v_dual_sub_f32 v41, v60, v45
	v_fma_f32 v34, v39, 2.0, -v28
	v_fma_f32 v39, v42, 2.0, -v33
	;; [unrolled: 1-line block ×3, first 2 shown]
	v_sub_f32_e32 v46, v22, v46
	v_sub_f32_e32 v47, v23, v50
	ds_store_2addr_b64 v113, v[28:29], v[26:27] offset0:34 offset1:51
	v_fma_f32 v26, v57, 2.0, -v36
	v_fma_f32 v27, v58, 2.0, -v37
	;; [unrolled: 1-line block ×5, first 2 shown]
	ds_store_2addr_b64 v113, v[34:35], v[30:31] offset1:17
	ds_store_2addr_b64 v112, v[36:37], v[32:33] offset0:34 offset1:51
	ds_store_2addr_b64 v112, v[26:27], v[38:39] offset1:17
	ds_store_2addr_b64 v111, v[28:29], v[42:43] offset1:17
	ds_store_2addr_b64 v111, v[40:41], v[24:25] offset0:34 offset1:51
	s_and_saveexec_b32 s1, s0
	s_cbranch_execz .LBB0_11
; %bb.10:
	v_and_b32_e32 v24, 0xffff, v110
	v_fma_f32 v21, v21, 2.0, -v1
	v_fma_f32 v20, v20, 2.0, -v0
	;; [unrolled: 1-line block ×4, first 2 shown]
	v_add_lshl_u32 v24, v52, v24, 3
	ds_store_2addr_b64 v24, v[22:23], v[20:21] offset1:17
	ds_store_2addr_b64 v24, v[46:47], v[0:1] offset0:34 offset1:51
.LBB0_11:
	s_wait_alu 0xfffe
	s_or_b32 exec_lo, exec_lo, s1
	global_wb scope:SCOPE_SE
	s_wait_dscnt 0x0
	s_barrier_signal -1
	s_barrier_wait -1
	global_inv scope:SCOPE_SE
	v_mul_lo_u16 v21, 0x79, v56
	global_load_b64 v[81:82], v104, s[2:3] offset:408
	v_add_nc_u32_e32 v20, 0x110, v106
	v_add_nc_u32_e32 v23, 0x198, v106
	v_lshrrev_b32_e32 v26, 22, v55
	v_lshrrev_b16 v21, 13, v21
	v_add_nc_u32_e32 v109, v107, v104
	v_and_b32_e32 v24, 0xffff, v20
	v_mad_co_u64_u32 v[50:51], null, v106, 48, s[2:3]
	s_delay_alu instid0(VALU_DEP_4) | instskip(SKIP_1) | instid1(VALU_DEP_4)
	v_mul_lo_u16 v21, 0x44, v21
	v_mul_lo_u16 v26, 0x44, v26
	v_mul_u32_u24_e32 v24, 0xf0f1, v24
	v_lshl_add_u32 v114, v106, 3, v107
	v_add_nc_u32_e32 v99, 0x400, v109
	v_sub_nc_u16 v21, v53, v21
	v_sub_nc_u16 v26, v54, v26
	v_lshrrev_b32_e32 v24, 22, v24
	v_add_nc_u32_e32 v95, 0x800, v109
	v_add_nc_u32_e32 v97, 0x1000, v109
	v_and_b32_e32 v32, 0xff, v21
	v_and_b32_e32 v33, 0xffff, v26
	v_mul_lo_u16 v24, 0x44, v24
	s_delay_alu instid0(VALU_DEP_2) | instskip(NEXT) | instid1(VALU_DEP_2)
	v_add_lshl_u32 v117, v52, v33, 3
	v_sub_nc_u16 v20, v20, v24
	v_lshlrev_b32_e32 v24, 3, v32
	global_load_b64 v[91:92], v24, s[2:3] offset:408
	v_add_nc_u32_e32 v22, 0x154, v106
	v_and_b32_e32 v27, 0xffff, v23
	v_and_b32_e32 v53, 0xffff, v20
	s_delay_alu instid0(VALU_DEP_3) | instskip(NEXT) | instid1(VALU_DEP_3)
	v_and_b32_e32 v25, 0xffff, v22
	v_mul_u32_u24_e32 v27, 0xf0f1, v27
	s_delay_alu instid0(VALU_DEP_2) | instskip(NEXT) | instid1(VALU_DEP_2)
	v_mul_u32_u24_e32 v25, 0xf0f1, v25
	v_lshrrev_b32_e32 v27, 22, v27
	s_delay_alu instid0(VALU_DEP_2) | instskip(NEXT) | instid1(VALU_DEP_1)
	v_lshrrev_b32_e32 v25, 22, v25
	v_mul_lo_u16 v21, 0x44, v25
	s_delay_alu instid0(VALU_DEP_3) | instskip(NEXT) | instid1(VALU_DEP_2)
	v_mul_lo_u16 v25, 0x44, v27
	v_sub_nc_u16 v21, v22, v21
	v_lshlrev_b32_e32 v22, 3, v33
	s_delay_alu instid0(VALU_DEP_3)
	v_sub_nc_u16 v23, v23, v25
	global_load_b64 v[89:90], v22, s[2:3] offset:408
	v_and_b32_e32 v54, 0xffff, v21
	v_and_b32_e32 v55, 0xffff, v23
	v_lshlrev_b32_e32 v20, 3, v53
	v_add_nc_u32_e32 v56, 0xc00, v108
	v_add_nc_u32_e32 v57, 0x400, v108
	v_lshlrev_b32_e32 v21, 3, v54
	v_lshlrev_b32_e32 v22, 3, v55
	s_clause 0x2
	global_load_b64 v[87:88], v20, s[2:3] offset:408
	global_load_b64 v[85:86], v21, s[2:3] offset:408
	global_load_b64 v[83:84], v22, s[2:3] offset:408
	ds_load_2addr_b64 v[20:23], v108 offset1:68
	ds_load_b64 v[44:45], v108 offset:1088
	ds_load_b64 v[48:49], v108 offset:4896
	ds_load_2addr_b64 v[24:27], v56 offset0:92 offset1:160
	v_add_nc_u32_e32 v60, 0x1000, v108
	v_add_nc_u32_e32 v58, 0x800, v108
	ds_load_2addr_b64 v[28:31], v57 offset0:76 offset1:144
	v_add_nc_u32_e32 v64, 0x1800, v108
	v_add_lshl_u32 v116, v52, v54, 3
	v_add_lshl_u32 v115, v52, v55, 3
	s_wait_loadcnt_dscnt 0x501
	v_mul_f32_e32 v54, v27, v82
	v_add_lshl_u32 v118, v52, v53, 3
	v_mul_f32_e32 v53, v24, v82
	v_add_lshl_u32 v119, v52, v32, 3
	v_mul_f32_e32 v52, v25, v82
	ds_load_2addr_b64 v[32:35], v60 offset0:168 offset1:236
	ds_load_2addr_b64 v[36:39], v58 offset0:84 offset1:152
	;; [unrolled: 1-line block ×3, first 2 shown]
	v_mul_f32_e32 v55, v26, v82
	v_fmac_f32_e32 v53, v25, v81
	v_fma_f32 v26, v26, v81, -v54
	v_fma_f32 v24, v24, v81, -v52
	global_wb scope:SCOPE_SE
	s_wait_loadcnt_dscnt 0x0
	v_fmac_f32_e32 v55, v27, v81
	v_dual_sub_f32 v25, v21, v53 :: v_dual_sub_f32 v26, v22, v26
	v_sub_f32_e32 v24, v20, v24
	s_barrier_signal -1
	s_delay_alu instid0(VALU_DEP_3) | instskip(NEXT) | instid1(VALU_DEP_3)
	v_sub_f32_e32 v27, v23, v55
	v_fma_f32 v21, v21, 2.0, -v25
	s_barrier_wait -1
	v_fma_f32 v20, v20, 2.0, -v24
	global_inv scope:SCOPE_SE
	v_fma_f32 v22, v22, 2.0, -v26
	v_fma_f32 v23, v23, 2.0, -v27
	v_add_nc_u32_e32 v59, 0x800, v117
	ds_store_2addr_b64 v108, v[20:21], v[24:25] offset1:68
	v_add_nc_u32_e32 v61, 0x800, v119
	v_add_nc_u32_e32 v52, 0x1000, v118
	ds_store_2addr_b64 v108, v[22:23], v[26:27] offset0:136 offset1:204
	v_mul_f32_e32 v20, v49, v92
	v_mul_f32_e32 v21, v48, v92
	s_delay_alu instid0(VALU_DEP_2) | instskip(NEXT) | instid1(VALU_DEP_2)
	v_fma_f32 v20, v48, v91, -v20
	v_fmac_f32_e32 v21, v49, v91
	s_delay_alu instid0(VALU_DEP_1) | instskip(SKIP_2) | instid1(VALU_DEP_2)
	v_sub_f32_e32 v21, v45, v21
	v_mul_f32_e32 v24, v33, v90
	v_mul_f32_e32 v25, v32, v90
	v_fma_f32 v22, v32, v89, -v24
	s_delay_alu instid0(VALU_DEP_2)
	v_fmac_f32_e32 v25, v33, v89
	v_add_nc_u32_e32 v53, 0x1000, v116
	v_mul_f32_e32 v24, v35, v88
	v_mul_f32_e32 v32, v34, v88
	v_sub_f32_e32 v22, v28, v22
	v_mul_f32_e32 v26, v41, v86
	v_mul_f32_e32 v33, v40, v86
	;; [unrolled: 1-line block ×3, first 2 shown]
	v_dual_mul_f32 v48, v42, v84 :: v_dual_sub_f32 v23, v29, v25
	v_fma_f32 v34, v34, v87, -v24
	v_fmac_f32_e32 v32, v35, v87
	v_dual_fmac_f32 v33, v41, v85 :: v_dual_add_nc_u32 v54, 0x1800, v115
	v_fma_f32 v35, v40, v85, -v26
	v_fma_f32 v40, v42, v83, -v27
	v_fmac_f32_e32 v48, v43, v83
	s_delay_alu instid0(VALU_DEP_4)
	v_dual_sub_f32 v20, v44, v20 :: v_dual_sub_f32 v33, v37, v33
	v_fma_f32 v26, v28, 2.0, -v22
	v_fma_f32 v27, v29, 2.0, -v23
	v_dual_sub_f32 v28, v30, v34 :: v_dual_sub_f32 v29, v31, v32
	v_dual_sub_f32 v32, v36, v35 :: v_dual_sub_f32 v35, v39, v48
	v_sub_f32_e32 v34, v38, v40
	v_fma_f32 v24, v44, 2.0, -v20
	v_fma_f32 v25, v45, 2.0, -v21
	v_fma_f32 v30, v30, 2.0, -v28
	v_fma_f32 v31, v31, 2.0, -v29
	v_fma_f32 v36, v36, 2.0, -v32
	v_fma_f32 v37, v37, 2.0, -v33
	v_fma_f32 v38, v38, 2.0, -v34
	v_fma_f32 v39, v39, 2.0, -v35
	ds_store_2addr_b64 v61, v[24:25], v[20:21] offset0:16 offset1:84
	ds_store_2addr_b64 v59, v[26:27], v[22:23] offset0:152 offset1:220
	;; [unrolled: 1-line block ×5, first 2 shown]
	global_wb scope:SCOPE_SE
	s_wait_dscnt 0x0
	s_barrier_signal -1
	s_barrier_wait -1
	global_inv scope:SCOPE_SE
	s_clause 0x5
	global_load_b128 v[40:43], v[50:51], off offset:952
	global_load_b128 v[32:35], v[50:51], off offset:968
	;; [unrolled: 1-line block ×6, first 2 shown]
	ds_load_b64 v[44:45], v108 offset:1088
	ds_load_2addr_b64 v[48:51], v57 offset0:76 offset1:144
	ds_load_2addr_b64 v[52:55], v58 offset0:84 offset1:152
	;; [unrolled: 1-line block ×5, first 2 shown]
	ds_load_b64 v[93:94], v108 offset:4896
	ds_load_2addr_b64 v[68:71], v108 offset1:68
	s_wait_loadcnt_dscnt 0x507
	v_mul_f32_e32 v100, v45, v41
	s_wait_loadcnt_dscnt 0x302
	v_dual_mul_f32 v127, v65, v23 :: v_dual_add_nc_u32 v98, 0x1400, v109
	v_dual_mul_f32 v101, v44, v41 :: v_dual_mul_f32 v102, v51, v43
	s_wait_loadcnt 0x2
	v_dual_mul_f32 v122, v54, v33 :: v_dual_mul_f32 v131, v53, v39
	v_dual_mul_f32 v124, v58, v35 :: v_dual_mul_f32 v125, v61, v21
	s_wait_loadcnt_dscnt 0x101
	v_dual_mul_f32 v126, v60, v21 :: v_dual_mul_f32 v135, v94, v31
	v_dual_mul_f32 v128, v64, v23 :: v_dual_mul_f32 v129, v49, v37
	s_wait_loadcnt 0x0
	v_dual_mul_f32 v130, v48, v37 :: v_dual_mul_f32 v139, v67, v27
	v_dual_mul_f32 v132, v52, v39 :: v_dual_mul_f32 v133, v57, v29
	v_dual_mul_f32 v123, v59, v35 :: v_dual_add_nc_u32 v96, 0xc00, v109
	v_dual_mul_f32 v120, v50, v43 :: v_dual_mul_f32 v121, v55, v33
	v_dual_mul_f32 v134, v56, v29 :: v_dual_fmac_f32 v101, v45, v40
	v_dual_mul_f32 v136, v93, v31 :: v_dual_mul_f32 v137, v63, v25
	v_fma_f32 v44, v44, v40, -v100
	v_fmac_f32_e32 v132, v53, v38
	v_fmac_f32_e32 v130, v49, v36
	;; [unrolled: 1-line block ×5, first 2 shown]
	v_fma_f32 v55, v64, v22, -v127
	v_fmac_f32_e32 v128, v65, v22
	v_mul_f32_e32 v140, v66, v27
	v_fmac_f32_e32 v120, v51, v42
	v_fma_f32 v51, v58, v34, -v123
	v_fma_f32 v48, v48, v36, -v129
	v_fma_f32 v49, v52, v38, -v131
	v_fma_f32 v52, v56, v28, -v133
	v_fmac_f32_e32 v134, v57, v28
	v_fma_f32 v56, v62, v24, -v137
	v_fma_f32 v57, v66, v26, -v139
	v_add_f32_e32 v58, v44, v55
	v_dual_sub_f32 v44, v44, v55 :: v_dual_sub_f32 v55, v101, v128
	v_fmac_f32_e32 v140, v67, v26
	s_delay_alu instid0(VALU_DEP_4)
	v_add_f32_e32 v64, v48, v57
	v_add_f32_e32 v66, v49, v56
	v_sub_f32_e32 v48, v48, v57
	v_fma_f32 v45, v50, v42, -v102
	v_sub_f32_e32 v57, v130, v140
	v_dual_mul_f32 v138, v62, v25 :: v_dual_add_f32 v59, v101, v128
	v_fma_f32 v50, v54, v32, -v121
	v_fma_f32 v54, v60, v20, -v125
	;; [unrolled: 1-line block ×3, first 2 shown]
	s_delay_alu instid0(VALU_DEP_4)
	v_fmac_f32_e32 v138, v63, v24
	v_dual_fmac_f32 v136, v94, v30 :: v_dual_sub_f32 v49, v49, v56
	v_add_f32_e32 v62, v50, v51
	v_sub_f32_e32 v50, v51, v50
	v_add_f32_e32 v60, v45, v54
	v_sub_f32_e32 v45, v45, v54
	v_add_f32_e32 v93, v52, v53
	v_add_f32_e32 v67, v132, v138
	;; [unrolled: 1-line block ×4, first 2 shown]
	v_sub_f32_e32 v123, v50, v45
	v_add_f32_e32 v61, v120, v126
	v_sub_f32_e32 v51, v124, v122
	v_sub_f32_e32 v54, v120, v126
	v_add_f32_e32 v126, v67, v65
	v_add_f32_e32 v121, v50, v45
	;; [unrolled: 1-line block ×3, first 2 shown]
	v_sub_f32_e32 v52, v53, v52
	v_sub_f32_e32 v120, v61, v59
	;; [unrolled: 1-line block ×4, first 2 shown]
	v_add_f32_e32 v63, v63, v101
	v_dual_sub_f32 v131, v52, v49 :: v_dual_add_f32 v94, v134, v136
	v_add_f32_e32 v129, v52, v49
	v_sub_f32_e32 v53, v136, v134
	v_add_f32_e32 v100, v60, v58
	s_delay_alu instid0(VALU_DEP_4)
	v_dual_sub_f32 v128, v67, v65 :: v_dual_sub_f32 v65, v65, v94
	v_dual_sub_f32 v67, v94, v67 :: v_dual_sub_f32 v56, v132, v138
	v_sub_f32_e32 v127, v66, v64
	v_dual_add_f32 v125, v66, v64 :: v_dual_sub_f32 v102, v60, v58
	v_sub_f32_e32 v133, v49, v48
	v_sub_f32_e32 v60, v62, v60
	;; [unrolled: 1-line block ×3, first 2 shown]
	v_dual_add_f32 v122, v51, v54 :: v_dual_mul_f32 v101, 0xbf08b237, v123
	v_sub_f32_e32 v124, v51, v54
	v_sub_f32_e32 v51, v55, v51
	v_dual_sub_f32 v45, v45, v44 :: v_dual_sub_f32 v54, v54, v55
	v_dual_mul_f32 v65, 0x3f4a47b2, v65 :: v_dual_add_f32 v130, v53, v56
	v_mul_f32_e32 v131, 0xbf08b237, v131
	v_dual_mul_f32 v49, 0x3f4a47b2, v58 :: v_dual_mul_f32 v58, 0x3f4a47b2, v59
	v_dual_mul_f32 v59, 0x3d64c772, v60 :: v_dual_sub_f32 v66, v93, v66
	v_sub_f32_e32 v132, v53, v56
	v_dual_sub_f32 v52, v48, v52 :: v_dual_sub_f32 v53, v57, v53
	v_dual_sub_f32 v56, v56, v57 :: v_dual_add_f32 v55, v122, v55
	v_sub_f32_e32 v50, v44, v50
	v_add_f32_e32 v44, v121, v44
	v_mul_f32_e32 v121, 0xbf08b237, v124
	v_dual_mul_f32 v123, 0x3f5ff5aa, v54 :: v_dual_add_f32 v124, v93, v125
	v_add_f32_e32 v125, v94, v126
	v_add_f32_e32 v62, v62, v100
	;; [unrolled: 1-line block ×3, first 2 shown]
	v_sub_f32_e32 v64, v64, v93
	v_fma_f32 v59, 0x3f3bfb3b, v102, -v59
	v_dual_mul_f32 v100, 0x3d64c772, v61 :: v_dual_fmamk_f32 v61, v61, 0x3d64c772, v58
	v_fma_f32 v58, 0xbf3bfb3b, v120, -v58
	v_dual_mul_f32 v130, 0x3d64c772, v67 :: v_dual_fmamk_f32 v67, v67, 0x3d64c772, v65
	v_dual_mul_f32 v122, 0x3f5ff5aa, v45 :: v_dual_mul_f32 v135, 0x3f5ff5aa, v56
	v_fma_f32 v45, 0x3f5ff5aa, v45, -v101
	s_wait_dscnt 0x0
	v_add_f32_e32 v94, v69, v63
	v_fmamk_f32 v60, v60, 0x3d64c772, v49
	v_fma_f32 v69, 0xbf3bfb3b, v102, -v49
	v_fma_f32 v54, 0x3f5ff5aa, v54, -v121
	v_add_f32_e32 v49, v71, v125
	v_add_f32_e32 v93, v68, v62
	v_fma_f32 v68, 0x3f3bfb3b, v120, -v100
	v_fmamk_f32 v100, v50, 0x3eae86e6, v101
	v_fmamk_f32 v101, v52, 0x3eae86e6, v131
	v_fmac_f32_e32 v45, 0x3ee1c552, v44
	v_fmamk_f32 v102, v51, 0x3eae86e6, v121
	v_fma_f32 v51, 0xbeae86e6, v51, -v123
	v_dual_add_f32 v126, v129, v48 :: v_dual_mul_f32 v129, 0x3d64c772, v66
	v_mul_f32_e32 v64, 0x3f4a47b2, v64
	v_fma_f32 v50, 0xbeae86e6, v50, -v122
	v_add_f32_e32 v48, v70, v124
	v_fma_f32 v121, 0x3f5ff5aa, v133, -v131
	v_fma_f32 v70, 0x3f3bfb3b, v127, -v129
	v_fmamk_f32 v66, v66, 0x3d64c772, v64
	v_fma_f32 v64, 0xbf3bfb3b, v127, -v64
	v_fma_f32 v127, 0xbeae86e6, v53, -v135
	v_fmac_f32_e32 v51, 0x3ee1c552, v55
	v_dual_fmac_f32 v102, 0x3ee1c552, v55 :: v_dual_fmac_f32 v121, 0x3ee1c552, v126
	v_fmac_f32_e32 v54, 0x3ee1c552, v55
	v_fmamk_f32 v55, v125, 0xbf955555, v49
	v_mul_f32_e32 v132, 0xbf08b237, v132
	v_dual_fmac_f32 v50, 0x3ee1c552, v44 :: v_dual_fmac_f32 v127, 0x3ee1c552, v57
	v_fma_f32 v65, 0xbf3bfb3b, v128, -v65
	s_delay_alu instid0(VALU_DEP_3) | instskip(SKIP_3) | instid1(VALU_DEP_4)
	v_dual_add_f32 v125, v67, v55 :: v_dual_fmamk_f32 v120, v53, 0x3eae86e6, v132
	v_fma_f32 v122, 0x3f5ff5aa, v56, -v132
	v_fmamk_f32 v53, v63, 0xbf955555, v94
	v_mul_f32_e32 v134, 0x3f5ff5aa, v133
	v_dual_fmac_f32 v101, 0x3ee1c552, v126 :: v_dual_fmac_f32 v120, 0x3ee1c552, v57
	s_delay_alu instid0(VALU_DEP_4) | instskip(NEXT) | instid1(VALU_DEP_4)
	v_fmac_f32_e32 v122, 0x3ee1c552, v57
	v_add_f32_e32 v57, v61, v53
	v_add_f32_e32 v63, v68, v53
	;; [unrolled: 1-line block ×3, first 2 shown]
	v_fma_f32 v71, 0x3f3bfb3b, v128, -v130
	ds_store_b64 v114, v[93:94]
	v_add_f32_e32 v61, v45, v63
	v_dual_sub_f32 v67, v53, v50 :: v_dual_fmac_f32 v100, 0x3ee1c552, v44
	v_add_f32_e32 v128, v71, v55
	v_add_f32_e32 v55, v65, v55
	v_fma_f32 v123, 0xbeae86e6, v52, -v134
	s_delay_alu instid0(VALU_DEP_4) | instskip(SKIP_1) | instid1(VALU_DEP_2)
	v_dual_fmamk_f32 v52, v62, 0xbf955555, v93 :: v_dual_add_f32 v71, v100, v57
	v_dual_fmamk_f32 v44, v124, 0xbf955555, v48 :: v_dual_sub_f32 v65, v57, v100
	v_dual_fmac_f32 v123, 0x3ee1c552, v126 :: v_dual_add_f32 v56, v60, v52
	v_add_f32_e32 v59, v59, v52
	v_dual_add_f32 v52, v69, v52 :: v_dual_sub_f32 v63, v63, v45
	s_delay_alu instid0(VALU_DEP_4) | instskip(SKIP_1) | instid1(VALU_DEP_3)
	v_dual_add_f32 v124, v66, v44 :: v_dual_add_f32 v45, v101, v125
	v_add_f32_e32 v69, v50, v53
	v_dual_sub_f32 v53, v128, v121 :: v_dual_add_f32 v66, v51, v52
	v_dual_sub_f32 v68, v52, v51 :: v_dual_sub_f32 v51, v125, v101
	v_add_f32_e32 v126, v70, v44
	v_add_f32_e32 v44, v64, v44
	v_sub_f32_e32 v60, v59, v54
	v_add_f32_e32 v62, v54, v59
	v_dual_sub_f32 v57, v55, v123 :: v_dual_add_f32 v50, v120, v124
	v_dual_add_f32 v59, v121, v128 :: v_dual_sub_f32 v58, v126, v122
	v_add_f32_e32 v52, v122, v126
	v_sub_f32_e32 v54, v44, v127
	v_dual_add_f32 v55, v123, v55 :: v_dual_add_f32 v64, v102, v56
	v_sub_f32_e32 v70, v56, v102
	v_add_f32_e32 v56, v127, v44
	v_sub_f32_e32 v44, v124, v120
	ds_store_2addr_b64 v109, v[48:49], v[64:65] offset0:68 offset1:136
	ds_store_2addr_b64 v99, v[50:51], v[66:67] offset0:76 offset1:144
	;; [unrolled: 1-line block ×6, first 2 shown]
	ds_store_b64 v109, v[44:45] offset:7072
	global_wb scope:SCOPE_SE
	s_wait_dscnt 0x0
	s_barrier_signal -1
	s_barrier_wait -1
	global_inv scope:SCOPE_SE
	s_and_saveexec_b32 s1, vcc_lo
	s_cbranch_execz .LBB0_13
; %bb.12:
	global_load_b64 v[99:100], v104, s[12:13] offset:7616
	s_add_nc_u64 s[2:3], s[12:13], 0x1dc0
	s_clause 0xf
	global_load_b64 v[148:149], v104, s[2:3] offset:448
	global_load_b64 v[150:151], v104, s[2:3] offset:896
	;; [unrolled: 1-line block ×16, first 2 shown]
	ds_load_b64 v[101:102], v114
	s_wait_loadcnt_dscnt 0x1000
	v_dual_mul_f32 v120, v102, v100 :: v_dual_add_nc_u32 v181, 0x1800, v109
	v_mul_f32_e32 v121, v101, v100
	s_delay_alu instid0(VALU_DEP_2) | instskip(NEXT) | instid1(VALU_DEP_2)
	v_fma_f32 v120, v101, v99, -v120
	v_fmac_f32_e32 v121, v102, v99
	ds_store_b64 v114, v[120:121]
	ds_load_2addr_b64 v[99:102], v109 offset0:56 offset1:112
	ds_load_2addr_b64 v[120:123], v109 offset0:168 offset1:224
	;; [unrolled: 1-line block ×8, first 2 shown]
	s_wait_loadcnt_dscnt 0xf07
	v_mul_f32_e32 v180, v99, v149
	s_wait_loadcnt 0xe
	v_dual_mul_f32 v182, v100, v149 :: v_dual_mul_f32 v183, v102, v151
	s_wait_loadcnt_dscnt 0xd06
	v_mul_f32_e32 v184, v121, v153
	v_dual_mul_f32 v149, v101, v151 :: v_dual_fmac_f32 v180, v100, v148
	v_mul_f32_e32 v151, v120, v153
	s_wait_loadcnt_dscnt 0xb05
	v_dual_mul_f32 v185, v123, v155 :: v_dual_mul_f32 v186, v125, v157
	s_wait_loadcnt_dscnt 0x904
	v_dual_mul_f32 v153, v122, v155 :: v_dual_mul_f32 v188, v129, v161
	v_mul_f32_e32 v155, v124, v157
	s_wait_loadcnt_dscnt 0x703
	v_dual_mul_f32 v187, v127, v159 :: v_dual_mul_f32 v190, v133, v165
	s_wait_loadcnt_dscnt 0x502
	v_dual_mul_f32 v157, v126, v159 :: v_dual_mul_f32 v192, v137, v169
	v_mul_f32_e32 v159, v128, v161
	s_wait_loadcnt_dscnt 0x301
	v_dual_mul_f32 v189, v131, v163 :: v_dual_mul_f32 v194, v141, v173
	s_wait_loadcnt_dscnt 0x100
	v_dual_mul_f32 v161, v130, v163 :: v_dual_mul_f32 v196, v145, v177
	v_mul_f32_e32 v163, v132, v165
	v_mul_f32_e32 v191, v135, v167
	;; [unrolled: 1-line block ×10, first 2 shown]
	s_wait_loadcnt 0x0
	v_mul_f32_e32 v197, v147, v179
	v_mul_f32_e32 v177, v146, v179
	v_fma_f32 v179, v99, v148, -v182
	v_fma_f32 v148, v101, v150, -v183
	v_fmac_f32_e32 v149, v102, v150
	v_fma_f32 v150, v120, v152, -v184
	v_fmac_f32_e32 v151, v121, v152
	;; [unrolled: 2-line block ×15, first 2 shown]
	ds_store_2addr_b64 v109, v[179:180], v[148:149] offset0:56 offset1:112
	ds_store_2addr_b64 v109, v[150:151], v[152:153] offset0:168 offset1:224
	;; [unrolled: 1-line block ×8, first 2 shown]
.LBB0_13:
	s_wait_alu 0xfffe
	s_or_b32 exec_lo, exec_lo, s1
	global_wb scope:SCOPE_SE
	s_wait_dscnt 0x0
	s_barrier_signal -1
	s_barrier_wait -1
	global_inv scope:SCOPE_SE
	s_and_saveexec_b32 s1, vcc_lo
	s_cbranch_execz .LBB0_15
; %bb.14:
	v_add_nc_u32_e32 v0, 0x800, v114
	v_add_nc_u32_e32 v1, 0xc00, v114
	;; [unrolled: 1-line block ×5, first 2 shown]
	ds_load_b64 v[93:94], v114
	ds_load_2addr_b64 v[64:67], v114 offset0:56 offset1:112
	ds_load_2addr_b64 v[60:63], v114 offset0:168 offset1:224
	;; [unrolled: 1-line block ×8, first 2 shown]
.LBB0_15:
	s_wait_alu 0xfffe
	s_or_b32 exec_lo, exec_lo, s1
	s_wait_dscnt 0x0
	v_dual_sub_f32 v136, v65, v3 :: v_dual_sub_f32 v143, v67, v1
	v_add_f32_e32 v138, v3, v65
	v_add_f32_e32 v124, v2, v64
	s_delay_alu instid0(VALU_DEP_3) | instskip(SKIP_1) | instid1(VALU_DEP_4)
	v_dual_sub_f32 v126, v64, v2 :: v_dual_mul_f32 v149, 0xbf65296c, v136
	v_mul_f32_e32 v127, 0xbf2c7751, v136
	v_dual_mul_f32 v132, 0x3dbcf732, v138 :: v_dual_sub_f32 v121, v66, v0
	v_dual_add_f32 v120, v0, v66 :: v_dual_mul_f32 v125, 0xbe3c28d5, v143
	s_delay_alu instid0(VALU_DEP_3) | instskip(NEXT) | instid1(VALU_DEP_3)
	v_fma_f32 v95, 0x3f3d2fb0, v124, -v127
	v_dual_fmamk_f32 v100, v126, 0xbf7ee86f, v132 :: v_dual_mul_f32 v133, 0xbf7ee86f, v143
	v_dual_mul_f32 v130, 0xbf7ee86f, v136 :: v_dual_add_f32 v147, v1, v67
	s_delay_alu instid0(VALU_DEP_3) | instskip(SKIP_1) | instid1(VALU_DEP_4)
	v_add_f32_e32 v95, v93, v95
	v_fma_f32 v97, 0x3ee437d1, v124, -v149
	v_fma_f32 v122, 0x3dbcf732, v120, -v133
	v_mul_f32_e32 v166, 0xbf763a35, v136
	v_mul_f32_e32 v128, 0x3f3d2fb0, v138
	v_fma_f32 v99, 0x3dbcf732, v124, -v130
	v_add_f32_e32 v97, v93, v97
	v_add_f32_e32 v95, v122, v95
	v_fma_f32 v101, 0xbe8c1d8e, v124, -v166
	s_delay_alu instid0(VALU_DEP_4) | instskip(SKIP_2) | instid1(VALU_DEP_4)
	v_dual_mul_f32 v152, 0x3ee437d1, v138 :: v_dual_add_f32 v99, v93, v99
	v_fmamk_f32 v96, v126, 0xbf2c7751, v128
	v_mul_f32_e32 v173, 0xbe8c1d8e, v138
	v_dual_add_f32 v101, v93, v101 :: v_dual_mul_f32 v160, 0xbf4c4adb, v143
	v_dual_mul_f32 v164, 0xbf1a4643, v147 :: v_dual_add_f32 v159, v47, v61
	s_delay_alu instid0(VALU_DEP_4) | instskip(SKIP_1) | instid1(VALU_DEP_4)
	v_dual_add_f32 v96, v94, v96 :: v_dual_sub_f32 v163, v63, v45
	v_add_f32_e32 v172, v45, v63
	v_fma_f32 v129, 0xbf1a4643, v120, -v160
	v_fmamk_f32 v98, v126, 0xbf65296c, v152
	v_dual_mul_f32 v137, 0x3dbcf732, v147 :: v_dual_add_f32 v100, v94, v100
	v_fmamk_f32 v122, v121, 0xbf4c4adb, v164
	s_delay_alu instid0(VALU_DEP_3) | instskip(NEXT) | instid1(VALU_DEP_3)
	v_dual_add_f32 v97, v129, v97 :: v_dual_add_f32 v98, v94, v98
	v_fmamk_f32 v123, v121, 0xbf7ee86f, v137
	v_mul_f32_e32 v193, 0x3f3d2fb0, v159
	v_mul_f32_e32 v183, 0xbf59a7d5, v147
	;; [unrolled: 1-line block ×4, first 2 shown]
	v_add_f32_e32 v96, v123, v96
	v_fma_f32 v123, 0xbf7ba420, v120, -v125
	v_fmamk_f32 v102, v126, 0xbf763a35, v173
	v_mul_f32_e32 v129, 0xbf7ba420, v147
	v_dual_mul_f32 v200, 0x3ee437d1, v172 :: v_dual_sub_f32 v187, v71, v53
	s_delay_alu instid0(VALU_DEP_3) | instskip(SKIP_2) | instid1(VALU_DEP_4)
	v_dual_add_f32 v99, v123, v99 :: v_dual_add_f32 v102, v94, v102
	v_fmamk_f32 v123, v121, 0x3f06c442, v183
	v_mul_f32_e32 v145, 0xbf1a4643, v159
	v_mul_f32_e32 v208, 0x3f7ee86f, v187
	v_dual_add_f32 v198, v59, v49 :: v_dual_sub_f32 v153, v61, v47
	s_delay_alu instid0(VALU_DEP_4) | instskip(SKIP_4) | instid1(VALU_DEP_3)
	v_add_f32_e32 v102, v123, v102
	v_sub_f32_e32 v123, v60, v46
	v_dual_fmamk_f32 v131, v121, 0xbe3c28d5, v129 :: v_dual_add_f32 v98, v122, v98
	v_fma_f32 v122, 0xbf59a7d5, v120, -v180
	v_mul_f32_e32 v142, 0xbf4c4adb, v153
	v_dual_mul_f32 v171, 0x3e3c28d5, v153 :: v_dual_add_f32 v100, v131, v100
	s_delay_alu instid0(VALU_DEP_3)
	v_dual_fmamk_f32 v134, v123, 0xbf4c4adb, v145 :: v_dual_add_f32 v101, v122, v101
	v_dual_add_f32 v122, v46, v60 :: v_dual_mul_f32 v135, 0x3f763a35, v153
	global_wb scope:SCOPE_SE
	v_add_f32_e32 v96, v134, v96
	s_barrier_signal -1
	v_fma_f32 v131, 0xbf1a4643, v122, -v142
	v_fma_f32 v139, 0xbf7ba420, v122, -v171
	v_mul_f32_e32 v176, 0xbf7ba420, v159
	s_barrier_wait -1
	global_inv scope:SCOPE_SE
	v_add_f32_e32 v95, v131, v95
	v_add_f32_e32 v97, v139, v97
	v_fma_f32 v131, 0xbe8c1d8e, v122, -v135
	v_mul_f32_e32 v150, 0xbe3c28d5, v163
	v_mul_f32_e32 v139, 0xbe8c1d8e, v159
	v_sub_f32_e32 v177, v69, v55
	v_add_f32_e32 v191, v53, v71
	v_add_f32_e32 v99, v131, v99
	s_delay_alu instid0(VALU_DEP_4) | instskip(NEXT) | instid1(VALU_DEP_4)
	v_dual_add_f32 v131, v44, v62 :: v_dual_fmamk_f32 v134, v123, 0x3f763a35, v139
	v_mul_f32_e32 v190, 0x3f2c7751, v177
	v_mul_f32_e32 v161, 0x3f06c442, v177
	;; [unrolled: 1-line block ×3, first 2 shown]
	s_delay_alu instid0(VALU_DEP_4) | instskip(SKIP_3) | instid1(VALU_DEP_4)
	v_fma_f32 v144, 0xbf7ba420, v131, -v150
	v_fmamk_f32 v140, v123, 0x3e3c28d5, v176
	v_add_f32_e32 v100, v134, v100
	v_dual_sub_f32 v134, v62, v44 :: v_dual_fmamk_f32 v141, v123, 0x3f2c7751, v193
	v_add_f32_e32 v95, v144, v95
	s_delay_alu instid0(VALU_DEP_4) | instskip(SKIP_1) | instid1(VALU_DEP_4)
	v_dual_add_f32 v98, v140, v98 :: v_dual_mul_f32 v189, 0x3f2c7751, v153
	v_mul_f32_e32 v146, 0x3f6eb680, v172
	v_add_f32_e32 v102, v141, v102
	v_fma_f32 v141, 0xbe8c1d8e, v131, -v184
	v_add_f32_e32 v182, v55, v69
	v_fma_f32 v140, 0x3f3d2fb0, v122, -v189
	v_mul_f32_e32 v170, 0xbf59a7d5, v191
	v_mul_f32_e32 v201, 0x3f6eb680, v191
	v_add_f32_e32 v97, v141, v97
	v_sub_f32_e32 v141, v68, v54
	v_dual_add_f32 v101, v140, v101 :: v_dual_mul_f32 v144, 0x3eb8f4ab, v163
	v_mul_f32_e32 v199, 0xbeb8f4ab, v187
	v_sub_f32_e32 v195, v49, v59
	v_dual_add_f32 v203, v57, v51 :: v_dual_sub_f32 v202, v51, v57
	s_delay_alu instid0(VALU_DEP_4) | instskip(SKIP_1) | instid1(VALU_DEP_4)
	v_fma_f32 v151, 0x3f6eb680, v131, -v144
	v_mul_f32_e32 v186, 0xbe8c1d8e, v172
	v_mul_f32_e32 v185, 0x3f65296c, v195
	;; [unrolled: 1-line block ×4, first 2 shown]
	s_delay_alu instid0(VALU_DEP_4)
	v_dual_add_f32 v99, v151, v99 :: v_dual_fmamk_f32 v148, v134, 0x3f763a35, v186
	v_mul_f32_e32 v155, 0xbf7ba420, v172
	v_fmamk_f32 v151, v134, 0xbf65296c, v200
	v_mul_f32_e32 v156, 0x3ee437d1, v182
	v_mul_f32_e32 v194, 0x3f6eb680, v203
	v_add_f32_e32 v98, v148, v98
	v_fmamk_f32 v140, v134, 0xbe3c28d5, v155
	s_delay_alu instid0(VALU_DEP_4) | instskip(NEXT) | instid1(VALU_DEP_2)
	v_dual_add_f32 v102, v151, v102 :: v_dual_fmamk_f32 v157, v141, 0xbf65296c, v156
	v_add_f32_e32 v96, v140, v96
	v_fmamk_f32 v140, v134, 0x3eb8f4ab, v146
	v_mul_f32_e32 v197, 0xbf65296c, v163
	s_delay_alu instid0(VALU_DEP_2) | instskip(SKIP_1) | instid1(VALU_DEP_3)
	v_dual_mul_f32 v165, 0xbf59a7d5, v182 :: v_dual_add_f32 v100, v140, v100
	v_add_f32_e32 v140, v54, v68
	v_fma_f32 v148, 0x3ee437d1, v131, -v197
	s_delay_alu instid0(VALU_DEP_3) | instskip(NEXT) | instid1(VALU_DEP_3)
	v_dual_mul_f32 v205, 0xbf7ba420, v182 :: v_dual_add_f32 v100, v157, v100
	v_fma_f32 v154, 0xbf59a7d5, v140, -v161
	v_fma_f32 v151, 0x3f3d2fb0, v140, -v190
	s_delay_alu instid0(VALU_DEP_4) | instskip(NEXT) | instid1(VALU_DEP_3)
	v_dual_add_f32 v101, v148, v101 :: v_dual_fmamk_f32 v148, v141, 0x3f06c442, v165
	v_dual_mul_f32 v196, 0x3f3d2fb0, v182 :: v_dual_add_f32 v95, v154, v95
	v_mul_f32_e32 v154, 0xbf65296c, v177
	s_delay_alu instid0(VALU_DEP_4) | instskip(SKIP_2) | instid1(VALU_DEP_4)
	v_add_f32_e32 v97, v151, v97
	v_mul_f32_e32 v204, 0xbe3c28d5, v177
	v_mul_f32_e32 v157, 0xbf06c442, v187
	v_fma_f32 v151, 0x3ee437d1, v140, -v154
	s_delay_alu instid0(VALU_DEP_1) | instskip(SKIP_1) | instid1(VALU_DEP_1)
	v_add_f32_e32 v99, v151, v99
	v_fmamk_f32 v151, v141, 0xbe3c28d5, v205
	v_dual_add_f32 v102, v151, v102 :: v_dual_sub_f32 v151, v70, v52
	v_add_f32_e32 v96, v148, v96
	v_fmamk_f32 v148, v141, 0x3f2c7751, v196
	s_delay_alu instid0(VALU_DEP_3) | instskip(NEXT) | instid1(VALU_DEP_2)
	v_fmamk_f32 v168, v151, 0xbeb8f4ab, v201
	v_add_f32_e32 v98, v148, v98
	v_fma_f32 v148, 0xbf7ba420, v140, -v204
	s_delay_alu instid0(VALU_DEP_2) | instskip(NEXT) | instid1(VALU_DEP_2)
	v_add_f32_e32 v98, v168, v98
	v_add_f32_e32 v101, v148, v101
	;; [unrolled: 1-line block ×3, first 2 shown]
	s_delay_alu instid0(VALU_DEP_1) | instskip(NEXT) | instid1(VALU_DEP_1)
	v_fma_f32 v167, 0x3f6eb680, v148, -v199
	v_add_f32_e32 v97, v167, v97
	v_fma_f32 v167, 0x3dbcf732, v148, -v208
	s_delay_alu instid0(VALU_DEP_1) | instskip(NEXT) | instid1(VALU_DEP_1)
	v_dual_mul_f32 v174, 0x3f763a35, v187 :: v_dual_add_f32 v101, v167, v101
	v_fma_f32 v158, 0xbe8c1d8e, v148, -v174
	s_delay_alu instid0(VALU_DEP_1) | instskip(SKIP_1) | instid1(VALU_DEP_1)
	v_add_f32_e32 v95, v158, v95
	v_fma_f32 v158, 0xbf59a7d5, v148, -v157
	v_add_f32_e32 v99, v158, v99
	v_add_f32_e32 v158, v58, v48
	s_delay_alu instid0(VALU_DEP_1) | instskip(NEXT) | instid1(VALU_DEP_1)
	v_fma_f32 v169, 0x3ee437d1, v158, -v185
	v_add_f32_e32 v95, v169, v95
	v_fma_f32 v169, 0x3dbcf732, v158, -v206
	s_delay_alu instid0(VALU_DEP_1) | instskip(SKIP_1) | instid1(VALU_DEP_1)
	v_dual_mul_f32 v178, 0xbe8c1d8e, v191 :: v_dual_add_f32 v97, v169, v97
	v_dual_fmamk_f32 v168, v151, 0x3f7ee86f, v210 :: v_dual_sub_f32 v169, v50, v56
	v_add_f32_e32 v102, v168, v102
	v_mul_f32_e32 v168, 0x3f4c4adb, v195
	s_delay_alu instid0(VALU_DEP_3) | instskip(NEXT) | instid1(VALU_DEP_2)
	v_fmamk_f32 v214, v169, 0x3eb8f4ab, v194
	v_fma_f32 v181, 0xbf1a4643, v158, -v168
	s_delay_alu instid0(VALU_DEP_1) | instskip(NEXT) | instid1(VALU_DEP_1)
	v_dual_fmamk_f32 v162, v151, 0x3f763a35, v178 :: v_dual_add_f32 v99, v181, v99
	v_add_f32_e32 v96, v162, v96
	v_fmamk_f32 v162, v151, 0xbf06c442, v170
	v_mul_f32_e32 v188, 0x3ee437d1, v198
	s_delay_alu instid0(VALU_DEP_2) | instskip(SKIP_1) | instid1(VALU_DEP_1)
	v_add_f32_e32 v100, v162, v100
	v_sub_f32_e32 v162, v48, v58
	v_fmamk_f32 v167, v162, 0x3f65296c, v188
	v_mul_f32_e32 v175, 0xbf1a4643, v198
	v_mul_f32_e32 v207, 0x3dbcf732, v198
	s_delay_alu instid0(VALU_DEP_3) | instskip(NEXT) | instid1(VALU_DEP_3)
	v_dual_mul_f32 v213, 0x3f6eb680, v198 :: v_dual_add_f32 v96, v167, v96
	v_dual_fmamk_f32 v192, v162, 0x3f4c4adb, v175 :: v_dual_add_f32 v167, v56, v50
	s_delay_alu instid0(VALU_DEP_2) | instskip(NEXT) | instid1(VALU_DEP_2)
	v_add_f32_e32 v96, v214, v96
	v_add_f32_e32 v100, v192, v100
	v_mul_f32_e32 v192, 0x3eb8f4ab, v202
	s_delay_alu instid0(VALU_DEP_1) | instskip(NEXT) | instid1(VALU_DEP_1)
	v_fma_f32 v211, 0x3f6eb680, v167, -v192
	v_add_f32_e32 v95, v211, v95
	v_fmamk_f32 v179, v162, 0xbf7ee86f, v207
	v_fmamk_f32 v181, v162, 0xbeb8f4ab, v213
	v_mul_f32_e32 v211, 0xbf59a7d5, v203
	v_mul_f32_e32 v209, 0xbf06c442, v202
	;; [unrolled: 1-line block ×3, first 2 shown]
	v_add_f32_e32 v98, v179, v98
	v_fma_f32 v179, 0x3f6eb680, v158, -v212
	v_add_f32_e32 v217, v181, v102
	v_mul_f32_e32 v181, 0x3f3d2fb0, v203
	v_fma_f32 v219, 0xbf1a4643, v167, -v214
	s_delay_alu instid0(VALU_DEP_4) | instskip(SKIP_1) | instid1(VALU_DEP_4)
	v_dual_add_f32 v216, v179, v101 :: v_dual_mul_f32 v179, 0x3f2c7751, v202
	v_fma_f32 v101, 0xbf59a7d5, v167, -v209
	v_fmamk_f32 v218, v169, 0x3f2c7751, v181
	s_delay_alu instid0(VALU_DEP_3) | instskip(NEXT) | instid1(VALU_DEP_3)
	v_fma_f32 v102, 0x3f3d2fb0, v167, -v179
	v_add_f32_e32 v97, v101, v97
	v_fmamk_f32 v101, v169, 0xbf06c442, v211
	s_delay_alu instid0(VALU_DEP_1) | instskip(NEXT) | instid1(VALU_DEP_1)
	v_dual_mul_f32 v215, 0xbf1a4643, v203 :: v_dual_add_f32 v98, v101, v98
	v_dual_fmamk_f32 v220, v169, 0xbf4c4adb, v215 :: v_dual_add_f32 v101, v102, v99
	v_add_f32_e32 v102, v218, v100
	s_delay_alu instid0(VALU_DEP_2)
	v_dual_add_f32 v99, v219, v216 :: v_dual_add_f32 v100, v220, v217
	s_and_saveexec_b32 s1, vcc_lo
	s_cbranch_execz .LBB0_17
; %bb.16:
	v_dual_add_f32 v65, v65, v94 :: v_dual_add_f32 v64, v64, v93
	v_mul_f32_e32 v227, 0x3eb8f4ab, v143
	v_dual_mul_f32 v216, 0x3f4c4adb, v134 :: v_dual_mul_f32 v217, 0x3f4c4adb, v163
	s_delay_alu instid0(VALU_DEP_3) | instskip(NEXT) | instid1(VALU_DEP_3)
	v_dual_add_f32 v65, v67, v65 :: v_dual_add_f32 v64, v66, v64
	v_fma_f32 v228, 0x3f6eb680, v120, -v227
	v_dual_mul_f32 v66, 0x3f65296c, v169 :: v_dual_mul_f32 v67, 0x3f65296c, v202
	s_delay_alu instid0(VALU_DEP_3) | instskip(SKIP_2) | instid1(VALU_DEP_3)
	v_dual_add_f32 v61, v61, v65 :: v_dual_add_f32 v60, v60, v64
	v_mul_f32_e32 v218, 0xbeb8f4ab, v141
	v_mul_f32_e32 v220, 0xbe3c28d5, v151
	v_dual_mul_f32 v222, 0x3f2c7751, v162 :: v_dual_add_f32 v61, v63, v61
	s_delay_alu instid0(VALU_DEP_4) | instskip(SKIP_3) | instid1(VALU_DEP_4)
	v_add_f32_e32 v60, v62, v60
	v_mul_f32_e32 v62, 0xbf2c7751, v151
	v_mul_f32_e32 v224, 0xbf763a35, v169
	v_fmac_f32_e32 v227, 0x3f6eb680, v120
	v_dual_add_f32 v61, v69, v61 :: v_dual_add_f32 v60, v68, v60
	v_mul_f32_e32 v69, 0x3f65296c, v143
	v_mul_f32_e32 v68, 0xbf06c442, v136
	s_delay_alu instid0(VALU_DEP_3) | instskip(NEXT) | instid1(VALU_DEP_4)
	v_dual_mul_f32 v226, 0xbe3c28d5, v136 :: v_dual_add_f32 v61, v71, v61
	v_add_f32_e32 v60, v70, v60
	v_mul_f32_e32 v70, 0xbf7ee86f, v123
	v_mul_f32_e32 v63, 0xbf2c7751, v187
	s_delay_alu instid0(VALU_DEP_4) | instskip(NEXT) | instid1(VALU_DEP_4)
	v_dual_mul_f32 v64, 0xbe3c28d5, v162 :: v_dual_add_f32 v49, v49, v61
	v_add_f32_e32 v48, v48, v60
	v_mul_f32_e32 v60, 0x3f7ee86f, v141
	v_mul_f32_e32 v61, 0x3f7ee86f, v177
	;; [unrolled: 1-line block ×3, first 2 shown]
	s_delay_alu instid0(VALU_DEP_4) | instskip(SKIP_3) | instid1(VALU_DEP_4)
	v_dual_add_f32 v49, v51, v49 :: v_dual_add_f32 v48, v50, v48
	v_mul_f32_e32 v50, 0xbf06c442, v126
	v_mul_f32_e32 v51, 0x3f65296c, v121
	;; [unrolled: 1-line block ×3, first 2 shown]
	v_dual_add_f32 v49, v57, v49 :: v_dual_add_f32 v48, v56, v48
	v_dual_mul_f32 v56, 0xbeb8f4ab, v123 :: v_dual_mul_f32 v57, 0xbeb8f4ab, v153
	v_mul_f32_e32 v219, 0xbeb8f4ab, v177
	s_delay_alu instid0(VALU_DEP_3) | instskip(SKIP_2) | instid1(VALU_DEP_3)
	v_dual_add_f32 v49, v59, v49 :: v_dual_add_f32 v48, v58, v48
	v_dual_mul_f32 v58, 0xbf06c442, v134 :: v_dual_mul_f32 v59, 0xbf06c442, v163
	v_mul_f32_e32 v221, 0xbe3c28d5, v187
	v_dual_add_f32 v49, v53, v49 :: v_dual_add_f32 v48, v52, v48
	v_mul_f32_e32 v52, 0xbf4c4adb, v126
	v_mul_f32_e32 v53, 0x3f763a35, v121
	;; [unrolled: 1-line block ×3, first 2 shown]
	s_delay_alu instid0(VALU_DEP_4) | instskip(SKIP_3) | instid1(VALU_DEP_4)
	v_dual_add_f32 v49, v55, v49 :: v_dual_add_f32 v48, v54, v48
	v_mul_f32_e32 v55, 0x3f763a35, v143
	v_mul_f32_e32 v54, 0xbf4c4adb, v136
	;; [unrolled: 1-line block ×3, first 2 shown]
	v_dual_add_f32 v45, v45, v49 :: v_dual_add_f32 v44, v44, v48
	v_mul_f32_e32 v49, 0x3eb8f4ab, v121
	v_mul_f32_e32 v48, 0xbe3c28d5, v126
	v_mul_f32_e32 v239, 0x3f7ee86f, v169
	s_delay_alu instid0(VALU_DEP_4) | instskip(SKIP_2) | instid1(VALU_DEP_3)
	v_dual_add_f32 v45, v47, v45 :: v_dual_add_f32 v44, v46, v44
	v_fma_f32 v46, 0x3ee437d1, v120, -v69
	v_fmamk_f32 v47, v147, 0x3f6eb680, v49
	v_dual_add_f32 v1, v1, v45 :: v_dual_add_f32 v0, v0, v44
	v_fma_f32 v44, 0xbe8c1d8e, v120, -v55
	v_fmamk_f32 v45, v147, 0x3ee437d1, v51
	v_fma_f32 v51, 0x3ee437d1, v147, -v51
	s_delay_alu instid0(VALU_DEP_4) | instskip(SKIP_3) | instid1(VALU_DEP_3)
	v_dual_add_f32 v1, v3, v1 :: v_dual_add_f32 v0, v2, v0
	v_fmamk_f32 v2, v138, 0xbf1a4643, v52
	v_fmamk_f32 v3, v147, 0xbe8c1d8e, v53
	v_fma_f32 v53, 0xbe8c1d8e, v147, -v53
	v_add_f32_e32 v2, v94, v2
	s_delay_alu instid0(VALU_DEP_1) | instskip(SKIP_1) | instid1(VALU_DEP_1)
	v_add_f32_e32 v2, v3, v2
	v_fma_f32 v3, 0xbf1a4643, v124, -v54
	v_add_f32_e32 v3, v93, v3
	v_fma_f32 v52, 0xbf1a4643, v138, -v52
	s_delay_alu instid0(VALU_DEP_2) | instskip(NEXT) | instid1(VALU_DEP_2)
	v_dual_add_f32 v3, v44, v3 :: v_dual_fmamk_f32 v44, v159, 0x3f6eb680, v56
	v_add_f32_e32 v52, v94, v52
	s_delay_alu instid0(VALU_DEP_2) | instskip(SKIP_1) | instid1(VALU_DEP_3)
	v_add_f32_e32 v2, v44, v2
	v_fma_f32 v44, 0x3f6eb680, v122, -v57
	v_dual_add_f32 v52, v53, v52 :: v_dual_fmac_f32 v57, 0x3f6eb680, v122
	s_delay_alu instid0(VALU_DEP_2) | instskip(SKIP_2) | instid1(VALU_DEP_2)
	v_add_f32_e32 v3, v44, v3
	v_fmamk_f32 v44, v172, 0xbf59a7d5, v58
	v_fmac_f32_e32 v54, 0xbf1a4643, v124
	v_add_f32_e32 v2, v44, v2
	v_fma_f32 v44, 0xbf59a7d5, v131, -v59
	v_fmac_f32_e32 v59, 0xbf59a7d5, v131
	v_fmac_f32_e32 v55, 0xbe8c1d8e, v120
	s_delay_alu instid0(VALU_DEP_3) | instskip(NEXT) | instid1(VALU_DEP_1)
	v_dual_add_f32 v3, v44, v3 :: v_dual_fmamk_f32 v44, v182, 0x3dbcf732, v60
	v_add_f32_e32 v2, v44, v2
	v_fma_f32 v44, 0x3dbcf732, v140, -v61
	v_fmac_f32_e32 v61, 0x3dbcf732, v140
	s_delay_alu instid0(VALU_DEP_2) | instskip(NEXT) | instid1(VALU_DEP_1)
	v_dual_add_f32 v3, v44, v3 :: v_dual_fmamk_f32 v44, v191, 0x3f3d2fb0, v62
	v_add_f32_e32 v2, v44, v2
	v_fma_f32 v44, 0x3f3d2fb0, v148, -v63
	s_delay_alu instid0(VALU_DEP_1) | instskip(NEXT) | instid1(VALU_DEP_1)
	v_dual_add_f32 v3, v44, v3 :: v_dual_fmamk_f32 v44, v198, 0xbf7ba420, v64
	v_add_f32_e32 v2, v44, v2
	v_fma_f32 v44, 0xbf7ba420, v158, -v65
	s_delay_alu instid0(VALU_DEP_1) | instskip(SKIP_1) | instid1(VALU_DEP_1)
	v_dual_fmac_f32 v65, 0xbf7ba420, v158 :: v_dual_add_f32 v44, v44, v3
	v_fmamk_f32 v3, v203, 0x3ee437d1, v66
	v_add_f32_e32 v3, v3, v2
	v_fma_f32 v2, 0x3ee437d1, v167, -v67
	v_fma_f32 v53, 0x3f6eb680, v159, -v56
	v_fmac_f32_e32 v67, 0x3ee437d1, v167
	v_fmac_f32_e32 v63, 0x3f3d2fb0, v148
	v_mul_f32_e32 v56, 0xbe8c1d8e, v124
	v_add_f32_e32 v2, v2, v44
	v_fmamk_f32 v44, v138, 0xbf59a7d5, v50
	v_add_f32_e32 v52, v53, v52
	v_fma_f32 v53, 0xbf59a7d5, v172, -v58
	v_add_f32_e32 v56, v56, v166
	s_delay_alu instid0(VALU_DEP_4) | instskip(NEXT) | instid1(VALU_DEP_3)
	v_add_f32_e32 v44, v94, v44
	v_add_f32_e32 v52, v53, v52
	;; [unrolled: 1-line block ×3, first 2 shown]
	v_fma_f32 v54, 0x3dbcf732, v182, -v60
	s_delay_alu instid0(VALU_DEP_4) | instskip(SKIP_1) | instid1(VALU_DEP_4)
	v_add_f32_e32 v44, v45, v44
	v_fma_f32 v45, 0xbf59a7d5, v124, -v68
	v_dual_add_f32 v56, v93, v56 :: v_dual_add_f32 v53, v55, v53
	s_delay_alu instid0(VALU_DEP_2) | instskip(NEXT) | instid1(VALU_DEP_2)
	v_add_f32_e32 v45, v93, v45
	v_add_f32_e32 v53, v57, v53
	s_delay_alu instid0(VALU_DEP_2) | instskip(NEXT) | instid1(VALU_DEP_2)
	v_dual_add_f32 v45, v46, v45 :: v_dual_fmamk_f32 v46, v159, 0x3dbcf732, v70
	v_dual_add_f32 v53, v59, v53 :: v_dual_add_f32 v52, v54, v52
	v_mul_f32_e32 v59, 0xbf1a4643, v120
	s_delay_alu instid0(VALU_DEP_3)
	v_add_f32_e32 v44, v46, v44
	v_fma_f32 v46, 0x3dbcf732, v122, -v71
	v_fmac_f32_e32 v69, 0x3ee437d1, v120
	v_add_f32_e32 v53, v61, v53
	v_add_f32_e32 v59, v59, v160
	v_mul_f32_e32 v61, 0xbeb8f4ab, v136
	v_dual_add_f32 v45, v46, v45 :: v_dual_fmamk_f32 v46, v172, 0xbf1a4643, v216
	v_fma_f32 v54, 0x3f3d2fb0, v191, -v62
	v_dual_add_f32 v53, v63, v53 :: v_dual_mul_f32 v62, 0x3f3d2fb0, v147
	s_delay_alu instid0(VALU_DEP_3) | instskip(SKIP_1) | instid1(VALU_DEP_4)
	v_add_f32_e32 v44, v46, v44
	v_fma_f32 v46, 0xbf1a4643, v131, -v217
	v_dual_fmac_f32 v217, 0xbf1a4643, v131 :: v_dual_add_f32 v52, v54, v52
	v_fma_f32 v54, 0xbf7ba420, v198, -v64
	s_delay_alu instid0(VALU_DEP_3) | instskip(SKIP_2) | instid1(VALU_DEP_4)
	v_dual_mul_f32 v64, 0x3dbcf732, v172 :: v_dual_add_f32 v45, v46, v45
	v_fmamk_f32 v46, v182, 0x3f6eb680, v218
	v_fma_f32 v50, 0xbf59a7d5, v138, -v50
	v_add_f32_e32 v52, v54, v52
	v_add_f32_e32 v54, v65, v53
	v_fma_f32 v53, 0x3ee437d1, v203, -v66
	v_add_f32_e32 v44, v46, v44
	v_fma_f32 v46, 0x3f6eb680, v140, -v219
	v_dual_add_f32 v50, v94, v50 :: v_dual_fmac_f32 v219, 0x3f6eb680, v140
	s_delay_alu instid0(VALU_DEP_4) | instskip(NEXT) | instid1(VALU_DEP_3)
	v_dual_add_f32 v53, v53, v52 :: v_dual_add_f32 v52, v67, v54
	v_dual_mul_f32 v54, 0xbf763a35, v126 :: v_dual_add_f32 v45, v46, v45
	v_fmamk_f32 v46, v191, 0xbf7ba420, v220
	s_delay_alu instid0(VALU_DEP_4) | instskip(SKIP_1) | instid1(VALU_DEP_4)
	v_add_f32_e32 v50, v51, v50
	v_fmac_f32_e32 v68, 0xbf59a7d5, v124
	v_dual_sub_f32 v54, v173, v54 :: v_dual_mul_f32 v55, 0x3f06c442, v121
	s_delay_alu instid0(VALU_DEP_4) | instskip(SKIP_1) | instid1(VALU_DEP_3)
	v_add_f32_e32 v44, v46, v44
	v_fma_f32 v46, 0xbf7ba420, v148, -v221
	v_dual_fmac_f32 v221, 0xbf7ba420, v148 :: v_dual_add_f32 v54, v94, v54
	s_delay_alu instid0(VALU_DEP_4) | instskip(SKIP_1) | instid1(VALU_DEP_4)
	v_sub_f32_e32 v55, v183, v55
	v_mul_f32_e32 v65, 0xbe8c1d8e, v182
	v_add_f32_e32 v45, v46, v45
	v_fmamk_f32 v46, v198, 0x3f3d2fb0, v222
	v_fma_f32 v51, 0x3dbcf732, v159, -v70
	v_dual_add_f32 v54, v55, v54 :: v_dual_mul_f32 v55, 0x3f2c7751, v123
	v_mul_f32_e32 v66, 0xbf1a4643, v191
	s_delay_alu instid0(VALU_DEP_4) | instskip(SKIP_4) | instid1(VALU_DEP_4)
	v_add_f32_e32 v44, v46, v44
	v_fma_f32 v46, 0x3f3d2fb0, v158, -v223
	v_add_f32_e32 v50, v51, v50
	v_fma_f32 v51, 0xbf1a4643, v172, -v216
	v_sub_f32_e32 v55, v193, v55
	v_dual_mul_f32 v67, 0xbf2c7751, v143 :: v_dual_add_f32 v46, v46, v45
	v_fmamk_f32 v45, v203, 0xbe8c1d8e, v224
	s_delay_alu instid0(VALU_DEP_4) | instskip(NEXT) | instid1(VALU_DEP_4)
	v_add_f32_e32 v50, v51, v50
	v_add_f32_e32 v54, v55, v54
	v_mul_f32_e32 v55, 0xbf65296c, v134
	s_delay_alu instid0(VALU_DEP_4)
	v_add_f32_e32 v45, v45, v44
	v_fma_f32 v44, 0xbe8c1d8e, v167, -v225
	v_fmac_f32_e32 v225, 0xbe8c1d8e, v167
	v_fmac_f32_e32 v223, 0x3f3d2fb0, v158
	;; [unrolled: 1-line block ×3, first 2 shown]
	v_sub_f32_e32 v55, v200, v55
	v_add_f32_e32 v44, v44, v46
	v_fmamk_f32 v46, v138, 0xbf7ba420, v48
	v_fma_f32 v48, 0xbf7ba420, v138, -v48
	s_delay_alu instid0(VALU_DEP_4) | instskip(NEXT) | instid1(VALU_DEP_3)
	v_dual_mul_f32 v57, 0xbf59a7d5, v120 :: v_dual_add_f32 v54, v55, v54
	v_dual_mul_f32 v55, 0xbe3c28d5, v141 :: v_dual_add_f32 v46, v94, v46
	s_delay_alu instid0(VALU_DEP_1) | instskip(SKIP_2) | instid1(VALU_DEP_3)
	v_dual_sub_f32 v55, v205, v55 :: v_dual_add_f32 v46, v47, v46
	v_fma_f32 v47, 0xbf7ba420, v124, -v226
	v_fma_f32 v49, 0x3f6eb680, v147, -v49
	v_dual_add_f32 v57, v57, v180 :: v_dual_add_f32 v54, v55, v54
	s_delay_alu instid0(VALU_DEP_3) | instskip(NEXT) | instid1(VALU_DEP_2)
	v_add_f32_e32 v47, v93, v47
	v_dual_add_f32 v56, v57, v56 :: v_dual_mul_f32 v57, 0x3f3d2fb0, v122
	v_mul_f32_e32 v55, 0x3f7ee86f, v151
	s_delay_alu instid0(VALU_DEP_3) | instskip(SKIP_1) | instid1(VALU_DEP_3)
	v_add_f32_e32 v47, v228, v47
	v_mul_f32_e32 v228, 0xbf06c442, v123
	v_sub_f32_e32 v55, v210, v55
	v_add_f32_e32 v57, v57, v189
	s_delay_alu instid0(VALU_DEP_3) | instskip(NEXT) | instid1(VALU_DEP_3)
	v_fmamk_f32 v229, v159, 0xbf59a7d5, v228
	v_add_f32_e32 v54, v55, v54
	s_delay_alu instid0(VALU_DEP_3) | instskip(NEXT) | instid1(VALU_DEP_3)
	v_add_f32_e32 v56, v57, v56
	v_dual_add_f32 v46, v229, v46 :: v_dual_mul_f32 v229, 0xbf06c442, v153
	v_dual_add_f32 v48, v94, v48 :: v_dual_mul_f32 v57, 0x3ee437d1, v131
	s_delay_alu instid0(VALU_DEP_2) | instskip(NEXT) | instid1(VALU_DEP_2)
	v_fma_f32 v230, 0xbf59a7d5, v122, -v229
	v_dual_fmac_f32 v229, 0xbf59a7d5, v122 :: v_dual_add_f32 v48, v49, v48
	v_fma_f32 v49, 0xbf59a7d5, v159, -v228
	s_delay_alu instid0(VALU_DEP_4) | instskip(NEXT) | instid1(VALU_DEP_4)
	v_add_f32_e32 v57, v57, v197
	v_dual_add_f32 v47, v230, v47 :: v_dual_mul_f32 v230, 0x3f2c7751, v134
	s_delay_alu instid0(VALU_DEP_3) | instskip(NEXT) | instid1(VALU_DEP_3)
	v_add_f32_e32 v48, v49, v48
	v_add_f32_e32 v55, v57, v56
	v_mul_f32_e32 v56, 0xbf7ba420, v140
	s_delay_alu instid0(VALU_DEP_4) | instskip(NEXT) | instid1(VALU_DEP_2)
	v_fmamk_f32 v231, v172, 0x3f3d2fb0, v230
	v_add_f32_e32 v56, v56, v204
	s_delay_alu instid0(VALU_DEP_2) | instskip(NEXT) | instid1(VALU_DEP_2)
	v_dual_add_f32 v46, v231, v46 :: v_dual_mul_f32 v231, 0x3f2c7751, v163
	v_dual_add_f32 v55, v56, v55 :: v_dual_mul_f32 v56, 0x3dbcf732, v148
	s_delay_alu instid0(VALU_DEP_2) | instskip(NEXT) | instid1(VALU_DEP_2)
	v_fma_f32 v232, 0x3f3d2fb0, v131, -v231
	v_dual_fmac_f32 v231, 0x3f3d2fb0, v131 :: v_dual_add_f32 v56, v56, v208
	s_delay_alu instid0(VALU_DEP_2) | instskip(NEXT) | instid1(VALU_DEP_2)
	v_dual_add_f32 v47, v232, v47 :: v_dual_mul_f32 v232, 0xbf4c4adb, v141
	v_dual_add_f32 v55, v56, v55 :: v_dual_mul_f32 v56, 0x3f6eb680, v158
	s_delay_alu instid0(VALU_DEP_2) | instskip(NEXT) | instid1(VALU_DEP_2)
	v_fmamk_f32 v233, v182, 0xbf1a4643, v232
	v_dual_mul_f32 v57, 0xbeb8f4ab, v162 :: v_dual_add_f32 v56, v56, v212
	s_delay_alu instid0(VALU_DEP_2) | instskip(NEXT) | instid1(VALU_DEP_2)
	v_dual_add_f32 v46, v233, v46 :: v_dual_mul_f32 v233, 0xbf4c4adb, v177
	v_dual_sub_f32 v57, v213, v57 :: v_dual_add_f32 v56, v56, v55
	v_mul_f32_e32 v55, 0xbf1a4643, v167
	s_delay_alu instid0(VALU_DEP_3) | instskip(NEXT) | instid1(VALU_DEP_3)
	v_fma_f32 v234, 0xbf1a4643, v140, -v233
	v_dual_add_f32 v54, v57, v54 :: v_dual_mul_f32 v57, 0xbf4c4adb, v169
	s_delay_alu instid0(VALU_DEP_2) | instskip(SKIP_2) | instid1(VALU_DEP_4)
	v_dual_add_f32 v58, v55, v214 :: v_dual_add_f32 v47, v234, v47
	v_mul_f32_e32 v234, 0x3f65296c, v151
	v_fma_f32 v51, 0x3f6eb680, v182, -v218
	v_sub_f32_e32 v57, v215, v57
	s_delay_alu instid0(VALU_DEP_2) | instskip(NEXT) | instid1(VALU_DEP_4)
	v_dual_add_f32 v50, v51, v50 :: v_dual_add_f32 v51, v93, v68
	v_fmamk_f32 v235, v191, 0x3ee437d1, v234
	s_delay_alu instid0(VALU_DEP_3) | instskip(NEXT) | instid1(VALU_DEP_3)
	v_dual_add_f32 v55, v57, v54 :: v_dual_add_f32 v54, v58, v56
	v_dual_mul_f32 v58, 0x3ee437d1, v124 :: v_dual_add_f32 v51, v69, v51
	s_delay_alu instid0(VALU_DEP_3) | instskip(SKIP_1) | instid1(VALU_DEP_3)
	v_dual_add_f32 v46, v235, v46 :: v_dual_mul_f32 v235, 0x3f65296c, v187
	v_mul_f32_e32 v240, 0x3f7ee86f, v202
	v_dual_mul_f32 v56, 0xbf65296c, v126 :: v_dual_add_f32 v51, v71, v51
	s_delay_alu instid0(VALU_DEP_4) | instskip(NEXT) | instid1(VALU_DEP_4)
	v_add_f32_e32 v58, v58, v149
	v_fma_f32 v236, 0x3ee437d1, v148, -v235
	s_delay_alu instid0(VALU_DEP_3) | instskip(NEXT) | instid1(VALU_DEP_4)
	v_dual_mul_f32 v57, 0xbf4c4adb, v121 :: v_dual_sub_f32 v56, v152, v56
	v_dual_fmac_f32 v226, 0xbf7ba420, v124 :: v_dual_add_f32 v51, v217, v51
	s_delay_alu instid0(VALU_DEP_3) | instskip(NEXT) | instid1(VALU_DEP_3)
	v_dual_add_f32 v47, v236, v47 :: v_dual_mul_f32 v236, 0xbf763a35, v162
	v_add_f32_e32 v56, v94, v56
	s_delay_alu instid0(VALU_DEP_4) | instskip(NEXT) | instid1(VALU_DEP_4)
	v_dual_add_f32 v58, v93, v58 :: v_dual_sub_f32 v57, v164, v57
	v_add_f32_e32 v49, v93, v226
	s_delay_alu instid0(VALU_DEP_4) | instskip(SKIP_1) | instid1(VALU_DEP_4)
	v_fmamk_f32 v237, v198, 0xbe8c1d8e, v236
	v_add_f32_e32 v51, v219, v51
	v_add_f32_e32 v58, v59, v58
	v_dual_add_f32 v56, v57, v56 :: v_dual_mul_f32 v57, 0x3e3c28d5, v123
	s_delay_alu instid0(VALU_DEP_4)
	v_dual_add_f32 v46, v237, v46 :: v_dual_mul_f32 v237, 0xbf763a35, v195
	v_mul_f32_e32 v59, 0xbf7ba420, v122
	v_add_f32_e32 v49, v227, v49
	v_add_f32_e32 v51, v221, v51
	v_mul_f32_e32 v149, 0xbe3c28d5, v202
	v_fma_f32 v238, 0xbe8c1d8e, v158, -v237
	v_add_f32_e32 v59, v59, v171
	v_sub_f32_e32 v57, v176, v57
	v_add_f32_e32 v49, v229, v49
	s_delay_alu instid0(VALU_DEP_4) | instskip(SKIP_4) | instid1(VALU_DEP_4)
	v_dual_fmac_f32 v237, 0xbe8c1d8e, v158 :: v_dual_add_f32 v238, v238, v47
	v_fmamk_f32 v47, v203, 0x3dbcf732, v239
	v_add_f32_e32 v58, v59, v58
	v_dual_add_f32 v56, v57, v56 :: v_dual_mul_f32 v57, 0x3f763a35, v134
	v_mul_f32_e32 v59, 0xbe8c1d8e, v131
	v_add_f32_e32 v47, v47, v46
	v_fma_f32 v46, 0x3dbcf732, v167, -v240
	v_fma_f32 v68, 0xbf7ba420, v191, -v220
	v_sub_f32_e32 v57, v186, v57
	v_add_f32_e32 v59, v59, v184
	s_delay_alu instid0(VALU_DEP_4) | instskip(NEXT) | instid1(VALU_DEP_4)
	v_dual_add_f32 v49, v231, v49 :: v_dual_add_f32 v46, v46, v238
	v_dual_fmac_f32 v235, 0x3ee437d1, v148 :: v_dual_add_f32 v50, v68, v50
	v_fma_f32 v68, 0x3f3d2fb0, v198, -v222
	v_dual_add_f32 v56, v57, v56 :: v_dual_mul_f32 v57, 0x3f2c7751, v141
	s_delay_alu instid0(VALU_DEP_2) | instskip(NEXT) | instid1(VALU_DEP_2)
	v_add_f32_e32 v50, v68, v50
	v_dual_fmac_f32 v240, 0x3dbcf732, v167 :: v_dual_sub_f32 v57, v196, v57
	v_dual_fmac_f32 v233, 0xbf1a4643, v140 :: v_dual_add_f32 v68, v223, v51
	v_fma_f32 v51, 0xbe8c1d8e, v203, -v224
	s_delay_alu instid0(VALU_DEP_3) | instskip(NEXT) | instid1(VALU_DEP_3)
	v_dual_add_f32 v56, v57, v56 :: v_dual_mul_f32 v57, 0xbeb8f4ab, v151
	v_add_f32_e32 v49, v233, v49
	s_delay_alu instid0(VALU_DEP_3) | instskip(NEXT) | instid1(VALU_DEP_3)
	v_dual_add_f32 v51, v51, v50 :: v_dual_add_f32 v50, v225, v68
	v_dual_fmamk_f32 v68, v120, 0x3f3d2fb0, v67 :: v_dual_sub_f32 v57, v201, v57
	s_delay_alu instid0(VALU_DEP_3) | instskip(SKIP_2) | instid1(VALU_DEP_4)
	v_add_f32_e32 v49, v235, v49
	v_fma_f32 v226, 0x3f3d2fb0, v172, -v230
	v_fma_f32 v67, 0x3f3d2fb0, v120, -v67
	v_dual_add_f32 v56, v57, v56 :: v_dual_add_f32 v57, v59, v58
	v_mul_f32_e32 v58, 0x3f3d2fb0, v140
	s_delay_alu instid0(VALU_DEP_4) | instskip(SKIP_1) | instid1(VALU_DEP_3)
	v_add_f32_e32 v48, v226, v48
	v_fma_f32 v226, 0xbf1a4643, v182, -v232
	v_add_f32_e32 v58, v58, v190
	s_delay_alu instid0(VALU_DEP_2) | instskip(SKIP_1) | instid1(VALU_DEP_3)
	v_add_f32_e32 v48, v226, v48
	v_fma_f32 v226, 0x3ee437d1, v191, -v234
	v_dual_add_f32 v57, v58, v57 :: v_dual_mul_f32 v58, 0x3f6eb680, v148
	s_delay_alu instid0(VALU_DEP_2) | instskip(SKIP_1) | instid1(VALU_DEP_3)
	v_add_f32_e32 v48, v226, v48
	v_fma_f32 v226, 0xbe8c1d8e, v198, -v236
	v_add_f32_e32 v58, v58, v199
	s_delay_alu instid0(VALU_DEP_2) | instskip(SKIP_1) | instid1(VALU_DEP_3)
	v_add_f32_e32 v48, v226, v48
	v_add_f32_e32 v226, v237, v49
	v_dual_add_f32 v57, v58, v57 :: v_dual_mul_f32 v58, 0x3dbcf732, v158
	v_fma_f32 v49, 0x3dbcf732, v203, -v239
	s_delay_alu instid0(VALU_DEP_2) | instskip(SKIP_1) | instid1(VALU_DEP_3)
	v_add_f32_e32 v58, v58, v206
	v_mul_f32_e32 v59, 0xbf7ee86f, v162
	v_dual_add_f32 v49, v49, v48 :: v_dual_add_f32 v48, v240, v226
	s_delay_alu instid0(VALU_DEP_3) | instskip(NEXT) | instid1(VALU_DEP_1)
	v_dual_add_f32 v58, v58, v57 :: v_dual_mul_f32 v57, 0xbf59a7d5, v167
	v_dual_sub_f32 v59, v207, v59 :: v_dual_add_f32 v60, v57, v209
	s_delay_alu instid0(VALU_DEP_1) | instskip(NEXT) | instid1(VALU_DEP_1)
	v_dual_add_f32 v56, v59, v56 :: v_dual_mul_f32 v59, 0xbf06c442, v169
	v_sub_f32_e32 v59, v211, v59
	s_delay_alu instid0(VALU_DEP_1) | instskip(SKIP_3) | instid1(VALU_DEP_3)
	v_dual_add_f32 v57, v59, v56 :: v_dual_add_f32 v56, v60, v58
	v_mul_f32_e32 v60, 0x3f6eb680, v138
	v_fmamk_f32 v59, v121, 0x3f2c7751, v62
	v_fmac_f32_e32 v62, 0xbf2c7751, v121
	v_fmamk_f32 v58, v126, 0x3eb8f4ab, v60
	v_fmac_f32_e32 v60, 0xbeb8f4ab, v126
	s_delay_alu instid0(VALU_DEP_2) | instskip(NEXT) | instid1(VALU_DEP_1)
	v_dual_mul_f32 v147, 0xbf7ba420, v203 :: v_dual_add_f32 v58, v94, v58
	v_dual_add_f32 v58, v59, v58 :: v_dual_mul_f32 v63, 0x3ee437d1, v159
	s_delay_alu instid0(VALU_DEP_1) | instskip(NEXT) | instid1(VALU_DEP_1)
	v_fmamk_f32 v59, v123, 0x3f65296c, v63
	v_dual_add_f32 v58, v59, v58 :: v_dual_fmamk_f32 v59, v134, 0x3f7ee86f, v64
	s_delay_alu instid0(VALU_DEP_1) | instskip(SKIP_1) | instid1(VALU_DEP_1)
	v_dual_fmac_f32 v63, 0xbf65296c, v123 :: v_dual_add_f32 v58, v59, v58
	v_fmamk_f32 v59, v141, 0x3f763a35, v65
	v_add_f32_e32 v58, v59, v58
	v_fmamk_f32 v59, v151, 0x3f4c4adb, v66
	v_fmac_f32_e32 v66, 0xbf4c4adb, v151
	s_delay_alu instid0(VALU_DEP_2) | instskip(SKIP_1) | instid1(VALU_DEP_2)
	v_dual_add_f32 v58, v59, v58 :: v_dual_fmamk_f32 v59, v124, 0x3f6eb680, v61
	v_fma_f32 v61, 0x3f6eb680, v124, -v61
	v_dual_add_f32 v59, v93, v59 :: v_dual_fmac_f32 v64, 0xbf7ee86f, v134
	s_delay_alu instid0(VALU_DEP_1) | instskip(NEXT) | instid1(VALU_DEP_1)
	v_dual_add_f32 v59, v68, v59 :: v_dual_mul_f32 v68, 0xbf65296c, v153
	v_fmamk_f32 v69, v122, 0x3ee437d1, v68
	v_fma_f32 v68, 0x3ee437d1, v122, -v68
	s_delay_alu instid0(VALU_DEP_2) | instskip(SKIP_1) | instid1(VALU_DEP_1)
	v_add_f32_e32 v59, v69, v59
	v_mul_f32_e32 v69, 0xbf7ee86f, v163
	v_fmamk_f32 v70, v131, 0x3dbcf732, v69
	s_delay_alu instid0(VALU_DEP_1) | instskip(NEXT) | instid1(VALU_DEP_1)
	v_dual_add_f32 v59, v70, v59 :: v_dual_mul_f32 v70, 0xbf59a7d5, v198
	v_fmamk_f32 v71, v162, 0x3f06c442, v70
	v_fmac_f32_e32 v70, 0xbf06c442, v162
	s_delay_alu instid0(VALU_DEP_2) | instskip(NEXT) | instid1(VALU_DEP_1)
	v_dual_add_f32 v58, v71, v58 :: v_dual_mul_f32 v71, 0xbf763a35, v177
	v_fmamk_f32 v136, v140, 0xbe8c1d8e, v71
	v_fmac_f32_e32 v65, 0xbf763a35, v141
	s_delay_alu instid0(VALU_DEP_2) | instskip(SKIP_1) | instid1(VALU_DEP_1)
	v_add_f32_e32 v59, v136, v59
	v_mul_f32_e32 v136, 0xbf4c4adb, v187
	v_fmamk_f32 v138, v148, 0xbf1a4643, v136
	s_delay_alu instid0(VALU_DEP_1) | instskip(SKIP_1) | instid1(VALU_DEP_1)
	v_add_f32_e32 v59, v138, v59
	v_mul_f32_e32 v138, 0xbf06c442, v195
	v_fmamk_f32 v143, v158, 0xbf59a7d5, v138
	s_delay_alu instid0(VALU_DEP_1) | instskip(SKIP_1) | instid1(VALU_DEP_1)
	v_add_f32_e32 v143, v143, v59
	v_fmamk_f32 v59, v169, 0x3e3c28d5, v147
	v_add_f32_e32 v59, v59, v58
	v_fmamk_f32 v58, v167, 0xbf7ba420, v149
	s_delay_alu instid0(VALU_DEP_1) | instskip(NEXT) | instid1(VALU_DEP_1)
	v_dual_add_f32 v58, v58, v143 :: v_dual_mul_f32 v143, 0xbf7ee86f, v126
	v_dual_sub_f32 v132, v132, v143 :: v_dual_mul_f32 v143, 0x3dbcf732, v124
	s_delay_alu instid0(VALU_DEP_1) | instskip(SKIP_1) | instid1(VALU_DEP_2)
	v_add_f32_e32 v130, v143, v130
	v_mul_f32_e32 v143, 0xbf2c7751, v126
	v_add_f32_e32 v126, v93, v130
	s_delay_alu instid0(VALU_DEP_2) | instskip(SKIP_1) | instid1(VALU_DEP_2)
	v_dual_sub_f32 v128, v128, v143 :: v_dual_mul_f32 v143, 0x3f3d2fb0, v124
	v_add_f32_e32 v124, v94, v132
	v_add_f32_e32 v128, v94, v128
	;; [unrolled: 1-line block ×3, first 2 shown]
	s_delay_alu instid0(VALU_DEP_4) | instskip(NEXT) | instid1(VALU_DEP_2)
	v_dual_mul_f32 v60, 0xbf7ee86f, v121 :: v_dual_add_f32 v127, v143, v127
	v_dual_fmac_f32 v147, 0xbe3c28d5, v169 :: v_dual_add_f32 v62, v62, v94
	s_delay_alu instid0(VALU_DEP_2) | instskip(SKIP_1) | instid1(VALU_DEP_3)
	v_sub_f32_e32 v60, v137, v60
	v_mul_f32_e32 v94, 0xbf59a7d5, v148
	v_add_f32_e32 v62, v63, v62
	s_delay_alu instid0(VALU_DEP_3) | instskip(SKIP_3) | instid1(VALU_DEP_3)
	v_add_f32_e32 v60, v60, v128
	v_dual_mul_f32 v128, 0x3dbcf732, v120 :: v_dual_add_f32 v127, v93, v127
	v_add_f32_e32 v93, v93, v61
	v_dual_mul_f32 v61, 0xbf4c4adb, v123 :: v_dual_add_f32 v94, v94, v157
	v_add_f32_e32 v128, v128, v133
	v_add_f32_e32 v62, v64, v62
	s_delay_alu instid0(VALU_DEP_3) | instskip(SKIP_1) | instid1(VALU_DEP_4)
	v_dual_mul_f32 v64, 0xbf1a4643, v158 :: v_dual_sub_f32 v61, v145, v61
	v_add_f32_e32 v67, v67, v93
	v_dual_add_f32 v127, v128, v127 :: v_dual_mul_f32 v128, 0xbf1a4643, v122
	s_delay_alu instid0(VALU_DEP_3) | instskip(NEXT) | instid1(VALU_DEP_4)
	v_add_f32_e32 v64, v64, v168
	v_dual_add_f32 v60, v61, v60 :: v_dual_mul_f32 v61, 0xbe3c28d5, v134
	v_add_f32_e32 v62, v65, v62
	s_delay_alu instid0(VALU_DEP_4) | instskip(SKIP_2) | instid1(VALU_DEP_4)
	v_add_f32_e32 v128, v128, v142
	v_add_f32_e32 v67, v68, v67
	v_fma_f32 v68, 0x3dbcf732, v131, -v69
	v_dual_sub_f32 v61, v155, v61 :: v_dual_add_f32 v62, v66, v62
	s_delay_alu instid0(VALU_DEP_4) | instskip(SKIP_1) | instid1(VALU_DEP_3)
	v_add_f32_e32 v127, v128, v127
	v_mul_f32_e32 v128, 0xbf7ba420, v131
	v_dual_add_f32 v67, v68, v67 :: v_dual_add_f32 v60, v61, v60
	v_mul_f32_e32 v61, 0x3f06c442, v141
	v_fma_f32 v68, 0xbe8c1d8e, v140, -v71
	s_delay_alu instid0(VALU_DEP_4)
	v_add_f32_e32 v128, v128, v150
	v_mul_f32_e32 v66, 0x3f3d2fb0, v167
	v_mul_f32_e32 v65, 0x3f2c7751, v169
	v_sub_f32_e32 v61, v165, v61
	v_add_f32_e32 v67, v68, v67
	v_fma_f32 v68, 0xbf1a4643, v148, -v136
	s_delay_alu instid0(VALU_DEP_4) | instskip(NEXT) | instid1(VALU_DEP_4)
	v_dual_add_f32 v66, v66, v179 :: v_dual_sub_f32 v65, v181, v65
	v_dual_add_f32 v60, v61, v60 :: v_dual_mul_f32 v61, 0x3f763a35, v151
	s_delay_alu instid0(VALU_DEP_3) | instskip(SKIP_4) | instid1(VALU_DEP_4)
	v_add_f32_e32 v67, v68, v67
	v_fma_f32 v68, 0xbf59a7d5, v158, -v138
	v_add_f32_e32 v69, v70, v62
	v_mul_lo_u16 v62, v106, 17
	v_sub_f32_e32 v61, v178, v61
	v_add_f32_e32 v67, v68, v67
	v_fma_f32 v68, 0xbf7ba420, v167, -v149
	s_delay_alu instid0(VALU_DEP_4) | instskip(NEXT) | instid1(VALU_DEP_4)
	v_and_b32_e32 v62, 0xffff, v62
	v_dual_add_f32 v60, v61, v60 :: v_dual_add_f32 v61, v128, v127
	v_mul_f32_e32 v127, 0xbf59a7d5, v140
	v_mul_f32_e32 v128, 0x3f65296c, v162
	s_delay_alu instid0(VALU_DEP_4) | instskip(NEXT) | instid1(VALU_DEP_2)
	v_lshl_add_u32 v70, v62, 3, v107
	v_dual_add_f32 v127, v127, v161 :: v_dual_sub_f32 v128, v188, v128
	s_delay_alu instid0(VALU_DEP_1) | instskip(SKIP_1) | instid1(VALU_DEP_3)
	v_add_f32_e32 v60, v128, v60
	v_mul_f32_e32 v128, 0x3eb8f4ab, v169
	v_add_f32_e32 v61, v127, v61
	v_mul_f32_e32 v127, 0xbe8c1d8e, v148
	s_delay_alu instid0(VALU_DEP_1) | instskip(NEXT) | instid1(VALU_DEP_1)
	v_dual_sub_f32 v128, v194, v128 :: v_dual_add_f32 v127, v127, v174
	v_add_f32_e32 v61, v127, v61
	v_mul_f32_e32 v127, 0x3ee437d1, v158
	s_delay_alu instid0(VALU_DEP_1) | instskip(NEXT) | instid1(VALU_DEP_1)
	v_add_f32_e32 v127, v127, v185
	v_add_f32_e32 v127, v127, v61
	v_mul_f32_e32 v61, 0x3f6eb680, v167
	s_delay_alu instid0(VALU_DEP_1) | instskip(SKIP_2) | instid1(VALU_DEP_1)
	v_add_f32_e32 v130, v61, v192
	v_add_f32_e32 v61, v128, v60
	v_mul_f32_e32 v128, 0xbf7ba420, v120
	v_add_f32_e32 v125, v128, v125
	s_delay_alu instid0(VALU_DEP_1) | instskip(SKIP_1) | instid1(VALU_DEP_1)
	v_add_f32_e32 v125, v125, v126
	v_mul_f32_e32 v126, 0xbe8c1d8e, v122
	v_add_f32_e32 v126, v126, v135
	s_delay_alu instid0(VALU_DEP_1) | instskip(NEXT) | instid1(VALU_DEP_1)
	v_dual_add_f32 v125, v126, v125 :: v_dual_mul_f32 v126, 0x3f6eb680, v131
	v_add_f32_e32 v126, v126, v144
	s_delay_alu instid0(VALU_DEP_1) | instskip(NEXT) | instid1(VALU_DEP_1)
	v_dual_add_f32 v125, v126, v125 :: v_dual_mul_f32 v126, 0x3ee437d1, v140
	v_add_f32_e32 v126, v126, v154
	v_dual_add_f32 v60, v130, v127 :: v_dual_mul_f32 v127, 0xbe3c28d5, v121
	v_mul_f32_e32 v121, 0x3f4c4adb, v162
	s_delay_alu instid0(VALU_DEP_3) | instskip(NEXT) | instid1(VALU_DEP_3)
	v_add_f32_e32 v125, v126, v125
	v_sub_f32_e32 v127, v129, v127
	s_delay_alu instid0(VALU_DEP_1) | instskip(NEXT) | instid1(VALU_DEP_1)
	v_dual_add_f32 v93, v94, v125 :: v_dual_add_f32 v124, v127, v124
	v_dual_mul_f32 v127, 0x3f763a35, v123 :: v_dual_add_f32 v64, v64, v93
	v_sub_f32_e32 v121, v175, v121
	s_delay_alu instid0(VALU_DEP_2) | instskip(SKIP_1) | instid1(VALU_DEP_2)
	v_dual_sub_f32 v127, v139, v127 :: v_dual_add_f32 v62, v66, v64
	v_add_f32_e32 v64, v68, v67
	v_dual_add_f32 v124, v127, v124 :: v_dual_mul_f32 v127, 0x3eb8f4ab, v134
	s_delay_alu instid0(VALU_DEP_1) | instskip(NEXT) | instid1(VALU_DEP_1)
	v_sub_f32_e32 v127, v146, v127
	v_dual_add_f32 v124, v127, v124 :: v_dual_mul_f32 v127, 0xbf65296c, v141
	s_delay_alu instid0(VALU_DEP_1) | instskip(NEXT) | instid1(VALU_DEP_1)
	v_sub_f32_e32 v127, v156, v127
	;; [unrolled: 3-line block ×3, first 2 shown]
	v_add_f32_e32 v124, v127, v124
	s_delay_alu instid0(VALU_DEP_1) | instskip(NEXT) | instid1(VALU_DEP_1)
	v_add_f32_e32 v63, v121, v124
	v_add_f32_e32 v63, v65, v63
	v_add_f32_e32 v65, v147, v69
	ds_store_2addr_b64 v70, v[0:1], v[58:59] offset1:1
	ds_store_2addr_b64 v70, v[60:61], v[56:57] offset0:2 offset1:3
	ds_store_2addr_b64 v70, v[62:63], v[54:55] offset0:4 offset1:5
	;; [unrolled: 1-line block ×7, first 2 shown]
	ds_store_b64 v70, v[64:65] offset:128
.LBB0_17:
	s_wait_alu 0xfffe
	s_or_b32 exec_lo, exec_lo, s1
	v_add_nc_u32_e32 v48, 0xc00, v108
	v_add_nc_u32_e32 v49, 0x1000, v108
	;; [unrolled: 1-line block ×4, first 2 shown]
	global_wb scope:SCOPE_SE
	s_wait_dscnt 0x0
	s_barrier_signal -1
	s_barrier_wait -1
	global_inv scope:SCOPE_SE
	ds_load_2addr_b64 v[44:47], v108 offset1:68
	ds_load_2addr_b64 v[0:3], v108 offset0:136 offset1:238
	ds_load_2addr_b64 v[60:63], v48 offset0:92 offset1:160
	;; [unrolled: 1-line block ×5, first 2 shown]
	s_and_saveexec_b32 s1, s0
	s_cbranch_execz .LBB0_19
; %bb.18:
	ds_load_b64 v[99:100], v108 offset:1632
	ds_load_b64 v[101:102], v108 offset:3536
	;; [unrolled: 1-line block ×4, first 2 shown]
.LBB0_19:
	s_wait_alu 0xfffe
	s_or_b32 exec_lo, exec_lo, s1
	s_wait_dscnt 0x4
	v_dual_mul_f32 v65, v17, v3 :: v_dual_add_nc_u32 v64, 0x220, v109
	s_wait_dscnt 0x3
	v_dual_mul_f32 v17, v17, v2 :: v_dual_mul_f32 v66, v19, v61
	v_mul_f32_e32 v19, v19, v60
	s_delay_alu instid0(VALU_DEP_3)
	v_fmac_f32_e32 v65, v16, v2
	s_wait_dscnt 0x2
	v_mul_f32_e32 v2, v80, v55
	v_mul_f32_e32 v67, v80, v54
	v_fma_f32 v3, v16, v3, -v17
	v_fmac_f32_e32 v66, v18, v60
	v_fma_f32 v16, v18, v61, -v19
	s_wait_dscnt 0x1
	v_mul_f32_e32 v18, v13, v57
	v_dual_fmac_f32 v2, v79, v54 :: v_dual_mul_f32 v13, v13, v56
	s_wait_dscnt 0x0
	v_dual_mul_f32 v19, v15, v63 :: v_dual_mul_f32 v54, v78, v49
	s_delay_alu instid0(VALU_DEP_3) | instskip(SKIP_2) | instid1(VALU_DEP_4)
	v_dual_mul_f32 v15, v15, v62 :: v_dual_fmac_f32 v18, v12, v56
	v_fma_f32 v17, v79, v55, -v67
	v_fma_f32 v12, v12, v57, -v13
	v_dual_fmac_f32 v19, v14, v62 :: v_dual_fmac_f32 v54, v77, v48
	s_delay_alu instid0(VALU_DEP_4) | instskip(SKIP_4) | instid1(VALU_DEP_3)
	v_fma_f32 v13, v14, v63, -v15
	v_mul_f32_e32 v14, v78, v48
	v_dual_mul_f32 v48, v9, v59 :: v_dual_mul_f32 v55, v11, v53
	v_mul_f32_e32 v11, v11, v52
	v_dual_sub_f32 v15, v44, v66 :: v_dual_sub_f32 v16, v45, v16
	v_dual_fmac_f32 v48, v8, v58 :: v_dual_fmac_f32 v55, v10, v52
	s_delay_alu instid0(VALU_DEP_3) | instskip(SKIP_1) | instid1(VALU_DEP_4)
	v_fma_f32 v52, v10, v53, -v11
	v_sub_f32_e32 v10, v3, v17
	v_fma_f32 v17, v45, 2.0, -v16
	v_sub_f32_e32 v45, v46, v19
	v_mul_f32_e32 v9, v9, v58
	v_sub_f32_e32 v52, v1, v52
	v_fma_f32 v14, v77, v49, -v14
	v_mul_f32_e32 v53, v76, v51
	v_fma_f32 v46, v46, 2.0, -v45
	v_mul_f32_e32 v11, v76, v50
	v_fma_f32 v49, v8, v59, -v9
	v_fma_f32 v8, v44, 2.0, -v15
	v_sub_f32_e32 v9, v65, v2
	v_fma_f32 v3, v3, 2.0, -v10
	v_fma_f32 v44, v75, v51, -v11
	v_sub_f32_e32 v19, v18, v54
	v_sub_f32_e32 v51, v12, v14
	v_add_f32_e32 v10, v15, v10
	v_dual_fmac_f32 v53, v75, v50 :: v_dual_sub_f32 v54, v0, v55
	v_sub_f32_e32 v50, v47, v13
	v_fma_f32 v13, v18, 2.0, -v19
	v_sub_f32_e32 v11, v16, v9
	v_fma_f32 v18, v12, 2.0, -v51
	v_fma_f32 v2, v65, 2.0, -v9
	;; [unrolled: 1-line block ×3, first 2 shown]
	v_sub_f32_e32 v12, v46, v13
	v_fma_f32 v14, v15, 2.0, -v10
	s_delay_alu instid0(VALU_DEP_4) | instskip(NEXT) | instid1(VALU_DEP_4)
	v_dual_sub_f32 v3, v17, v3 :: v_dual_sub_f32 v2, v8, v2
	v_dual_sub_f32 v13, v47, v18 :: v_dual_add_f32 v18, v45, v51
	v_fma_f32 v15, v16, 2.0, -v11
	v_fma_f32 v16, v46, 2.0, -v12
	v_dual_sub_f32 v46, v49, v44 :: v_dual_sub_f32 v53, v48, v53
	v_fma_f32 v51, v0, 2.0, -v54
	v_fma_f32 v55, v1, 2.0, -v52
	;; [unrolled: 1-line block ×6, first 2 shown]
	v_add_f32_e32 v46, v54, v46
	v_sub_f32_e32 v19, v50, v19
	v_fma_f32 v0, v45, 2.0, -v18
	v_sub_f32_e32 v44, v51, v1
	v_sub_f32_e32 v45, v55, v48
	v_sub_f32_e32 v47, v52, v53
	v_fma_f32 v8, v8, 2.0, -v2
	v_fma_f32 v1, v50, 2.0, -v19
	;; [unrolled: 1-line block ×6, first 2 shown]
	global_wb scope:SCOPE_SE
	s_barrier_signal -1
	s_barrier_wait -1
	global_inv scope:SCOPE_SE
	ds_store_2addr_b64 v113, v[8:9], v[14:15] offset1:17
	ds_store_2addr_b64 v113, v[2:3], v[10:11] offset0:34 offset1:51
	ds_store_2addr_b64 v112, v[16:17], v[0:1] offset1:17
	ds_store_2addr_b64 v112, v[12:13], v[18:19] offset0:34 offset1:51
	;; [unrolled: 2-line block ×3, first 2 shown]
	s_and_saveexec_b32 s1, s0
	s_cbranch_execz .LBB0_21
; %bb.20:
	v_dual_mul_f32 v2, v7, v98 :: v_dual_mul_f32 v3, v5, v101
	v_dual_mul_f32 v0, v7, v97 :: v_dual_mul_f32 v1, v5, v102
	s_delay_alu instid0(VALU_DEP_2) | instskip(NEXT) | instid1(VALU_DEP_3)
	v_fmac_f32_e32 v2, v6, v97
	v_fma_f32 v3, v4, v102, -v3
	v_mul_f32_e32 v5, v74, v95
	s_delay_alu instid0(VALU_DEP_4) | instskip(SKIP_2) | instid1(VALU_DEP_4)
	v_fma_f32 v0, v6, v98, -v0
	v_mul_f32_e32 v7, v74, v96
	v_fmac_f32_e32 v1, v4, v101
	v_fma_f32 v4, v73, v96, -v5
	s_delay_alu instid0(VALU_DEP_4) | instskip(NEXT) | instid1(VALU_DEP_2)
	v_sub_f32_e32 v5, v100, v0
	v_sub_f32_e32 v0, v3, v4
	v_dual_sub_f32 v4, v99, v2 :: v_dual_fmac_f32 v7, v73, v95
	s_delay_alu instid0(VALU_DEP_2) | instskip(NEXT) | instid1(VALU_DEP_2)
	v_fma_f32 v3, v3, 2.0, -v0
	v_fma_f32 v8, v99, 2.0, -v4
	s_delay_alu instid0(VALU_DEP_3) | instskip(SKIP_2) | instid1(VALU_DEP_3)
	v_sub_f32_e32 v2, v1, v7
	v_fma_f32 v6, v100, 2.0, -v5
	v_add_f32_e32 v0, v4, v0
	v_fma_f32 v7, v1, 2.0, -v2
	v_sub_f32_e32 v1, v5, v2
	s_delay_alu instid0(VALU_DEP_4)
	v_sub_f32_e32 v3, v6, v3
	v_and_b32_e32 v9, 0xffff, v110
	v_fma_f32 v4, v4, 2.0, -v0
	v_sub_f32_e32 v2, v8, v7
	v_fma_f32 v5, v5, 2.0, -v1
	v_fma_f32 v7, v6, 2.0, -v3
	v_lshl_add_u32 v9, v9, 3, v107
	s_delay_alu instid0(VALU_DEP_4)
	v_fma_f32 v6, v8, 2.0, -v2
	ds_store_2addr_b64 v9, v[6:7], v[4:5] offset1:17
	ds_store_2addr_b64 v9, v[2:3], v[0:1] offset0:34 offset1:51
.LBB0_21:
	s_wait_alu 0xfffe
	s_or_b32 exec_lo, exec_lo, s1
	v_add_nc_u32_e32 v52, 0xc00, v108
	global_wb scope:SCOPE_SE
	s_wait_dscnt 0x0
	s_barrier_signal -1
	s_barrier_wait -1
	global_inv scope:SCOPE_SE
	ds_load_b64 v[48:49], v108 offset:4896
	ds_load_2addr_b64 v[0:3], v52 offset0:92 offset1:160
	v_add_nc_u32_e32 v53, 0x1000, v108
	v_add_nc_u32_e32 v56, 0x800, v108
	s_wait_dscnt 0x1
	v_dual_mul_f32 v57, v92, v49 :: v_dual_add_nc_u32 v54, 0x400, v108
	s_wait_dscnt 0x0
	v_mul_f32_e32 v59, v82, v1
	v_mul_f32_e32 v62, v82, v2
	ds_load_2addr_b64 v[4:7], v53 offset0:168 offset1:236
	v_mul_f32_e32 v61, v82, v3
	v_mul_f32_e32 v60, v82, v0
	v_add_nc_u32_e32 v55, 0x1800, v108
	v_mul_f32_e32 v58, v92, v48
	v_fmac_f32_e32 v57, v91, v48
	v_fmac_f32_e32 v61, v81, v2
	v_fma_f32 v1, v81, v1, -v60
	v_fma_f32 v3, v81, v3, -v62
	;; [unrolled: 1-line block ×3, first 2 shown]
	s_wait_dscnt 0x0
	v_mul_f32_e32 v60, v88, v7
	ds_load_b64 v[50:51], v108 offset:1088
	ds_load_2addr_b64 v[8:11], v108 offset1:68
	ds_load_2addr_b64 v[12:15], v54 offset0:76 offset1:144
	ds_load_2addr_b64 v[16:19], v55 offset0:48 offset1:116
	;; [unrolled: 1-line block ×3, first 2 shown]
	v_mul_f32_e32 v49, v90, v5
	v_dual_fmac_f32 v59, v81, v0 :: v_dual_mul_f32 v0, v88, v6
	v_mul_f32_e32 v58, v90, v4
	s_delay_alu instid0(VALU_DEP_3)
	v_dual_fmac_f32 v60, v87, v6 :: v_dual_fmac_f32 v49, v89, v4
	global_wb scope:SCOPE_SE
	s_wait_dscnt 0x0
	v_fma_f32 v65, v87, v7, -v0
	s_barrier_signal -1
	s_barrier_wait -1
	global_inv scope:SCOPE_SE
	v_sub_f32_e32 v1, v9, v1
	v_dual_sub_f32 v3, v11, v3 :: v_dual_mul_f32 v62, v86, v17
	v_dual_mul_f32 v63, v84, v19 :: v_dual_mul_f32 v2, v86, v16
	v_mul_f32_e32 v4, v84, v18
	v_sub_f32_e32 v0, v8, v59
	v_fma_f32 v58, v89, v5, -v58
	s_delay_alu instid0(VALU_DEP_4)
	v_dual_fmac_f32 v62, v85, v16 :: v_dual_fmac_f32 v63, v83, v18
	v_fma_f32 v66, v85, v17, -v2
	v_sub_f32_e32 v2, v10, v61
	v_fma_f32 v59, v83, v19, -v4
	v_fma_f32 v5, v9, 2.0, -v1
	v_sub_f32_e32 v9, v51, v48
	v_fma_f32 v4, v8, 2.0, -v0
	v_sub_f32_e32 v8, v50, v57
	;; [unrolled: 2-line block ×4, first 2 shown]
	v_dual_sub_f32 v18, v14, v60 :: v_dual_sub_f32 v19, v15, v65
	v_sub_f32_e32 v48, v44, v62
	v_sub_f32_e32 v49, v45, v66
	v_fma_f32 v16, v50, 2.0, -v8
	v_fma_f32 v17, v51, 2.0, -v9
	v_sub_f32_e32 v50, v46, v63
	v_sub_f32_e32 v51, v47, v59
	ds_store_2addr_b64 v108, v[4:5], v[0:1] offset1:68
	ds_store_2addr_b64 v108, v[6:7], v[2:3] offset0:136 offset1:204
	v_add_nc_u32_e32 v3, 0x1000, v116
	v_add_nc_u32_e32 v0, 0x800, v119
	v_fma_f32 v12, v12, 2.0, -v10
	v_fma_f32 v13, v13, 2.0, -v11
	v_add_nc_u32_e32 v1, 0x800, v117
	v_fma_f32 v14, v14, 2.0, -v18
	v_fma_f32 v15, v15, 2.0, -v19
	;; [unrolled: 3-line block ×3, first 2 shown]
	v_fma_f32 v46, v46, 2.0, -v50
	v_fma_f32 v47, v47, 2.0, -v51
	v_add_nc_u32_e32 v4, 0x1800, v115
	ds_store_2addr_b64 v0, v[16:17], v[8:9] offset0:16 offset1:84
	ds_store_2addr_b64 v1, v[12:13], v[10:11] offset0:152 offset1:220
	;; [unrolled: 1-line block ×5, first 2 shown]
	global_wb scope:SCOPE_SE
	s_wait_dscnt 0x0
	s_barrier_signal -1
	s_barrier_wait -1
	global_inv scope:SCOPE_SE
	ds_load_b64 v[47:48], v108 offset:1088
	ds_load_2addr_b64 v[0:3], v54 offset0:76 offset1:144
	ds_load_2addr_b64 v[4:7], v56 offset0:84 offset1:152
	;; [unrolled: 1-line block ×5, first 2 shown]
	ds_load_b64 v[49:50], v108 offset:4896
	s_wait_dscnt 0x6
	v_mul_f32_e32 v51, v41, v48
	s_wait_dscnt 0x5
	v_mul_f32_e32 v53, v43, v2
	v_mul_f32_e32 v41, v41, v47
	;; [unrolled: 1-line block ×3, first 2 shown]
	ds_load_2addr_b64 v[43:46], v108 offset1:68
	v_fmac_f32_e32 v51, v40, v47
	v_fma_f32 v40, v40, v48, -v41
	s_wait_dscnt 0x4
	v_dual_fmac_f32 v52, v42, v2 :: v_dual_mul_f32 v41, v35, v11
	v_fma_f32 v2, v42, v3, -v53
	s_wait_dscnt 0x3
	v_mul_f32_e32 v42, v21, v13
	v_mul_f32_e32 v3, v33, v7
	;; [unrolled: 1-line block ×4, first 2 shown]
	v_dual_fmac_f32 v41, v34, v10 :: v_dual_mul_f32 v10, v21, v12
	v_fmac_f32_e32 v42, v20, v12
	s_wait_dscnt 0x2
	v_dual_fmac_f32 v3, v32, v6 :: v_dual_mul_f32 v12, v23, v16
	v_fma_f32 v6, v32, v7, -v33
	v_fma_f32 v7, v34, v11, -v35
	v_mul_f32_e32 v11, v23, v17
	v_mul_f32_e32 v21, v37, v1
	v_fma_f32 v10, v20, v13, -v10
	s_wait_dscnt 0x1
	v_dual_mul_f32 v20, v31, v50 :: v_dual_mul_f32 v23, v37, v0
	v_mul_f32_e32 v13, v39, v4
	v_fmac_f32_e32 v11, v22, v16
	v_fma_f32 v12, v22, v17, -v12
	v_dual_fmac_f32 v21, v36, v0 :: v_dual_mul_f32 v16, v29, v9
	v_mul_f32_e32 v17, v29, v8
	v_fma_f32 v22, v38, v5, -v13
	v_fmac_f32_e32 v20, v30, v49
	v_fma_f32 v0, v36, v1, -v23
	v_mul_f32_e32 v1, v39, v5
	v_mul_f32_e32 v23, v25, v15
	v_dual_mul_f32 v5, v25, v14 :: v_dual_fmac_f32 v16, v28, v8
	v_fma_f32 v17, v28, v9, -v17
	v_mul_f32_e32 v8, v27, v18
	s_delay_alu instid0(VALU_DEP_4)
	v_fmac_f32_e32 v23, v24, v14
	v_sub_f32_e32 v13, v52, v42
	v_dual_sub_f32 v9, v40, v12 :: v_dual_add_f32 v14, v6, v7
	v_fma_f32 v24, v24, v15, -v5
	v_dual_add_f32 v5, v40, v12 :: v_dual_sub_f32 v6, v7, v6
	v_add_f32_e32 v12, v2, v10
	v_dual_fmac_f32 v1, v38, v4 :: v_dual_mul_f32 v4, v31, v49
	v_dual_mul_f32 v25, v27, v19 :: v_dual_sub_f32 v2, v2, v10
	v_add_f32_e32 v10, v3, v41
	s_delay_alu instid0(VALU_DEP_4) | instskip(NEXT) | instid1(VALU_DEP_4)
	v_add_f32_e32 v15, v12, v5
	v_fma_f32 v27, v30, v50, -v4
	v_add_f32_e32 v4, v51, v11
	v_sub_f32_e32 v3, v41, v3
	v_fmac_f32_e32 v25, v26, v18
	v_fma_f32 v18, v26, v19, -v8
	v_dual_sub_f32 v8, v51, v11 :: v_dual_add_f32 v11, v52, v42
	v_dual_sub_f32 v26, v12, v5 :: v_dual_sub_f32 v5, v5, v14
	v_sub_f32_e32 v12, v14, v12
	v_sub_f32_e32 v31, v6, v2
	s_delay_alu instid0(VALU_DEP_4) | instskip(SKIP_3) | instid1(VALU_DEP_4)
	v_add_f32_e32 v7, v11, v4
	v_dual_sub_f32 v19, v11, v4 :: v_dual_sub_f32 v4, v4, v10
	v_dual_sub_f32 v11, v10, v11 :: v_dual_sub_f32 v30, v3, v13
	v_sub_f32_e32 v32, v8, v3
	v_add_f32_e32 v7, v10, v7
	v_add_f32_e32 v29, v6, v2
	v_sub_f32_e32 v6, v9, v6
	v_add_f32_e32 v10, v14, v15
	v_sub_f32_e32 v14, v2, v9
	v_add_f32_e32 v28, v3, v13
	s_wait_dscnt 0x0
	s_delay_alu instid0(VALU_DEP_3) | instskip(SKIP_1) | instid1(VALU_DEP_3)
	v_dual_mul_f32 v4, 0x3f4a47b2, v4 :: v_dual_add_f32 v3, v44, v10
	v_sub_f32_e32 v13, v13, v8
	v_dual_add_f32 v8, v28, v8 :: v_dual_mul_f32 v5, 0x3f4a47b2, v5
	v_mul_f32_e32 v28, 0x3d64c772, v12
	s_delay_alu instid0(VALU_DEP_2) | instskip(SKIP_2) | instid1(VALU_DEP_4)
	v_fmamk_f32 v12, v12, 0x3d64c772, v5
	v_dual_add_f32 v2, v43, v7 :: v_dual_add_f32 v9, v29, v9
	v_dual_mul_f32 v29, 0x3f08b237, v30 :: v_dual_mul_f32 v30, 0x3f08b237, v31
	v_fma_f32 v28, 0x3f3bfb3b, v26, -v28
	v_fma_f32 v5, 0xbf3bfb3b, v26, -v5
	s_delay_alu instid0(VALU_DEP_4) | instskip(NEXT) | instid1(VALU_DEP_4)
	v_fmamk_f32 v7, v7, 0xbf955555, v2
	v_fmamk_f32 v26, v6, 0xbeae86e6, v30
	s_delay_alu instid0(VALU_DEP_1)
	v_fmac_f32_e32 v26, 0xbee1c552, v9
	v_fmamk_f32 v10, v10, 0xbf955555, v3
	v_mul_f32_e32 v15, 0x3d64c772, v11
	v_mul_f32_e32 v31, 0xbf5ff5aa, v13
	v_fmamk_f32 v11, v11, 0x3d64c772, v4
	v_fma_f32 v4, 0xbf3bfb3b, v19, -v4
	v_fma_f32 v13, 0xbf5ff5aa, v13, -v29
	;; [unrolled: 1-line block ×3, first 2 shown]
	v_fmamk_f32 v19, v32, 0xbeae86e6, v29
	v_fma_f32 v29, 0x3eae86e6, v32, -v31
	v_dual_add_f32 v31, v11, v7 :: v_dual_add_f32 v32, v12, v10
	s_delay_alu instid0(VALU_DEP_4)
	v_add_f32_e32 v11, v15, v7
	v_add_f32_e32 v15, v4, v7
	v_mul_f32_e32 v33, 0xbf5ff5aa, v14
	v_fma_f32 v14, 0xbf5ff5aa, v14, -v30
	v_add_f32_e32 v12, v28, v10
	v_dual_add_f32 v28, v5, v10 :: v_dual_fmac_f32 v13, 0xbee1c552, v8
	s_delay_alu instid0(VALU_DEP_4) | instskip(NEXT) | instid1(VALU_DEP_4)
	v_fma_f32 v30, 0x3eae86e6, v6, -v33
	v_dual_fmac_f32 v29, 0xbee1c552, v8 :: v_dual_fmac_f32 v14, 0xbee1c552, v9
	s_delay_alu instid0(VALU_DEP_2) | instskip(SKIP_1) | instid1(VALU_DEP_3)
	v_dual_fmac_f32 v30, 0xbee1c552, v9 :: v_dual_fmac_f32 v19, 0xbee1c552, v8
	v_add_f32_e32 v4, v26, v31
	v_sub_f32_e32 v8, v11, v14
	v_add_f32_e32 v10, v14, v11
	v_sub_f32_e32 v14, v31, v26
	v_add_f32_e32 v6, v30, v15
	v_add_f32_e32 v26, v0, v18
	v_sub_f32_e32 v0, v0, v18
	v_dual_add_f32 v18, v1, v23 :: v_dual_sub_f32 v7, v28, v29
	v_add_f32_e32 v9, v13, v12
	v_dual_sub_f32 v11, v12, v13 :: v_dual_sub_f32 v12, v15, v30
	v_sub_f32_e32 v5, v32, v19
	v_sub_f32_e32 v1, v1, v23
	v_add_f32_e32 v23, v16, v20
	v_sub_f32_e32 v16, v20, v16
	v_add_f32_e32 v15, v19, v32
	v_add_f32_e32 v19, v21, v25
	v_sub_f32_e32 v21, v21, v25
	s_delay_alu instid0(VALU_DEP_4)
	v_dual_add_f32 v25, v22, v24 :: v_dual_sub_f32 v32, v16, v1
	v_sub_f32_e32 v22, v22, v24
	v_add_f32_e32 v24, v17, v27
	v_add_f32_e32 v13, v29, v28
	v_sub_f32_e32 v17, v27, v17
	v_add_f32_e32 v27, v25, v26
	s_delay_alu instid0(VALU_DEP_4) | instskip(SKIP_4) | instid1(VALU_DEP_4)
	v_dual_sub_f32 v29, v25, v26 :: v_dual_sub_f32 v26, v26, v24
	v_add_f32_e32 v20, v18, v19
	v_sub_f32_e32 v28, v18, v19
	v_add_f32_e32 v30, v16, v1
	v_dual_sub_f32 v18, v23, v18 :: v_dual_sub_f32 v25, v24, v25
	v_add_f32_e32 v20, v23, v20
	v_dual_sub_f32 v19, v19, v23 :: v_dual_sub_f32 v34, v21, v16
	v_add_f32_e32 v31, v17, v22
	s_delay_alu instid0(VALU_DEP_3)
	v_add_f32_e32 v16, v45, v20
	v_sub_f32_e32 v1, v1, v21
	v_add_f32_e32 v21, v30, v21
	v_mul_f32_e32 v19, 0x3f4a47b2, v19
	v_sub_f32_e32 v35, v0, v17
	v_dual_fmamk_f32 v20, v20, 0xbf955555, v16 :: v_dual_sub_f32 v33, v17, v22
	v_sub_f32_e32 v22, v22, v0
	v_mul_f32_e32 v30, 0x3f08b237, v32
	v_mul_f32_e32 v32, 0xbf5ff5aa, v1
	s_delay_alu instid0(VALU_DEP_4) | instskip(SKIP_4) | instid1(VALU_DEP_4)
	v_dual_add_f32 v0, v31, v0 :: v_dual_mul_f32 v31, 0x3f08b237, v33
	v_dual_add_f32 v23, v24, v27 :: v_dual_mul_f32 v24, 0x3f4a47b2, v26
	v_dual_mul_f32 v26, 0x3d64c772, v18 :: v_dual_mul_f32 v27, 0x3d64c772, v25
	v_fmamk_f32 v18, v18, 0x3d64c772, v19
	v_fma_f32 v19, 0xbf3bfb3b, v28, -v19
	v_fmamk_f32 v25, v25, 0x3d64c772, v24
	s_delay_alu instid0(VALU_DEP_4) | instskip(SKIP_4) | instid1(VALU_DEP_4)
	v_fma_f32 v26, 0x3f3bfb3b, v28, -v26
	v_dual_fmamk_f32 v28, v35, 0xbeae86e6, v31 :: v_dual_add_f32 v17, v46, v23
	v_fma_f32 v27, 0x3f3bfb3b, v29, -v27
	v_fma_f32 v24, 0xbf3bfb3b, v29, -v24
	;; [unrolled: 1-line block ×3, first 2 shown]
	v_fmac_f32_e32 v28, 0xbee1c552, v0
	v_fmamk_f32 v29, v34, 0xbeae86e6, v30
	v_fma_f32 v30, 0xbf5ff5aa, v22, -v31
	v_fma_f32 v31, 0x3eae86e6, v34, -v32
	s_delay_alu instid0(VALU_DEP_2) | instskip(SKIP_1) | instid1(VALU_DEP_1)
	v_fmac_f32_e32 v30, 0xbee1c552, v0
	v_fmamk_f32 v23, v23, 0xbf955555, v17
	v_dual_add_f32 v34, v25, v23 :: v_dual_add_f32 v25, v26, v20
	v_add_f32_e32 v26, v27, v23
	v_add_f32_e32 v27, v19, v20
	v_mul_f32_e32 v33, 0xbf5ff5aa, v22
	v_fmac_f32_e32 v1, 0xbee1c552, v21
	v_fmac_f32_e32 v31, 0xbee1c552, v21
	s_delay_alu instid0(VALU_DEP_3) | instskip(SKIP_2) | instid1(VALU_DEP_3)
	v_fma_f32 v32, 0x3eae86e6, v35, -v33
	v_add_f32_e32 v33, v18, v20
	v_add_f32_e32 v35, v24, v23
	v_dual_add_f32 v23, v1, v26 :: v_dual_fmac_f32 v32, 0xbee1c552, v0
	v_add_nc_u32_e32 v0, 0x1000, v109
	s_delay_alu instid0(VALU_DEP_4) | instskip(SKIP_1) | instid1(VALU_DEP_4)
	v_add_f32_e32 v18, v28, v33
	v_dual_sub_f32 v28, v33, v28 :: v_dual_fmac_f32 v29, 0xbee1c552, v21
	v_add_f32_e32 v20, v32, v27
	v_sub_f32_e32 v21, v35, v31
	s_delay_alu instid0(VALU_DEP_3)
	v_dual_sub_f32 v19, v34, v29 :: v_dual_sub_f32 v22, v25, v30
	v_add_f32_e32 v24, v30, v25
	v_sub_f32_e32 v25, v26, v1
	v_add_nc_u32_e32 v1, 0x800, v109
	ds_store_b64 v114, v[2:3]
	ds_store_2addr_b64 v1, v[6:7], v[8:9] offset0:16 offset1:152
	ds_store_2addr_b64 v0, v[10:11], v[12:13] offset0:32 offset1:168
	v_add_nc_u32_e32 v2, 0x400, v64
	v_add_nc_u32_e32 v3, 0xc00, v64
	v_sub_f32_e32 v26, v27, v32
	v_add_f32_e32 v27, v31, v35
	v_dual_add_f32 v29, v29, v34 :: v_dual_add_nc_u32 v6, 0x1400, v64
	ds_store_b64 v109, v[14:15] offset:6528
	ds_store_2addr_b64 v109, v[16:17], v[4:5] offset0:68 offset1:136
	ds_store_2addr_b64 v2, v[18:19], v[20:21] offset0:8 offset1:144
	ds_store_2addr_b64 v3, v[22:23], v[24:25] offset0:24 offset1:160
	ds_store_2addr_b64 v6, v[26:27], v[28:29] offset0:40 offset1:176
	global_wb scope:SCOPE_SE
	s_wait_dscnt 0x0
	s_barrier_signal -1
	s_barrier_wait -1
	global_inv scope:SCOPE_SE
	s_and_b32 exec_lo, exec_lo, vcc_lo
	s_cbranch_execz .LBB0_23
; %bb.22:
	global_load_b64 v[2:3], v104, s[12:13]
	ds_load_b64 v[4:5], v114
	v_mad_co_u64_u32 v[8:9], null, s4, v106, 0
	s_mov_b32 s0, 0x1135c811
	s_mov_b32 s1, 0x3f5135c8
	s_mul_u64 s[2:3], s[4:5], 0x1c0
	s_wait_loadcnt_dscnt 0x0
	v_mul_f32_e32 v6, v5, v3
	v_mul_f32_e32 v3, v4, v3
	s_delay_alu instid0(VALU_DEP_2) | instskip(NEXT) | instid1(VALU_DEP_2)
	v_fmac_f32_e32 v6, v4, v2
	v_fma_f32 v4, v2, v5, -v3
	s_delay_alu instid0(VALU_DEP_2) | instskip(NEXT) | instid1(VALU_DEP_2)
	v_cvt_f64_f32_e32 v[2:3], v6
	v_cvt_f64_f32_e32 v[4:5], v4
	v_mad_co_u64_u32 v[6:7], null, s6, v72, 0
	s_wait_alu 0xfffe
	s_delay_alu instid0(VALU_DEP_3) | instskip(NEXT) | instid1(VALU_DEP_3)
	v_mul_f64_e32 v[2:3], s[0:1], v[2:3]
	v_mul_f64_e32 v[4:5], s[0:1], v[4:5]
	s_delay_alu instid0(VALU_DEP_2) | instskip(NEXT) | instid1(VALU_DEP_2)
	v_cvt_f32_f64_e32 v2, v[2:3]
	v_cvt_f32_f64_e32 v3, v[4:5]
	v_dual_mov_b32 v5, v9 :: v_dual_mov_b32 v4, v7
	s_delay_alu instid0(VALU_DEP_1) | instskip(SKIP_1) | instid1(VALU_DEP_2)
	v_mad_co_u64_u32 v[9:10], null, s7, v72, v[4:5]
	v_mad_co_u64_u32 v[4:5], null, s5, v106, v[5:6]
	v_mov_b32_e32 v7, v9
	s_delay_alu instid0(VALU_DEP_2) | instskip(NEXT) | instid1(VALU_DEP_2)
	v_mov_b32_e32 v9, v4
	v_lshlrev_b64_e32 v[4:5], 3, v[6:7]
	s_delay_alu instid0(VALU_DEP_2) | instskip(NEXT) | instid1(VALU_DEP_2)
	v_lshlrev_b64_e32 v[6:7], 3, v[8:9]
	v_add_co_u32 v10, vcc_lo, s14, v4
	s_delay_alu instid0(VALU_DEP_3) | instskip(NEXT) | instid1(VALU_DEP_2)
	v_add_co_ci_u32_e32 v11, vcc_lo, s15, v5, vcc_lo
	v_add_co_u32 v6, vcc_lo, v10, v6
	s_wait_alu 0xfffd
	s_delay_alu instid0(VALU_DEP_2)
	v_add_co_ci_u32_e32 v7, vcc_lo, v11, v7, vcc_lo
	global_store_b64 v[6:7], v[2:3], off
	global_load_b64 v[8:9], v104, s[12:13] offset:448
	ds_load_2addr_b64 v[2:5], v109 offset0:56 offset1:112
	v_add_co_u32 v6, vcc_lo, v6, s2
	s_wait_alu 0xfffd
	v_add_co_ci_u32_e32 v7, vcc_lo, s3, v7, vcc_lo
	s_wait_loadcnt_dscnt 0x0
	v_mul_f32_e32 v12, v3, v9
	v_mul_f32_e32 v9, v2, v9
	s_delay_alu instid0(VALU_DEP_2) | instskip(NEXT) | instid1(VALU_DEP_2)
	v_fmac_f32_e32 v12, v2, v8
	v_fma_f32 v8, v8, v3, -v9
	s_delay_alu instid0(VALU_DEP_2) | instskip(NEXT) | instid1(VALU_DEP_2)
	v_cvt_f64_f32_e32 v[2:3], v12
	v_cvt_f64_f32_e32 v[8:9], v8
	s_delay_alu instid0(VALU_DEP_2) | instskip(NEXT) | instid1(VALU_DEP_2)
	v_mul_f64_e32 v[2:3], s[0:1], v[2:3]
	v_mul_f64_e32 v[8:9], s[0:1], v[8:9]
	s_delay_alu instid0(VALU_DEP_2) | instskip(NEXT) | instid1(VALU_DEP_2)
	v_cvt_f32_f64_e32 v2, v[2:3]
	v_cvt_f32_f64_e32 v3, v[8:9]
	global_store_b64 v[6:7], v[2:3], off
	global_load_b64 v[2:3], v104, s[12:13] offset:896
	v_add_co_u32 v6, vcc_lo, v6, s2
	s_wait_alu 0xfffd
	v_add_co_ci_u32_e32 v7, vcc_lo, s3, v7, vcc_lo
	s_wait_loadcnt 0x0
	v_mul_f32_e32 v8, v5, v3
	v_mul_f32_e32 v3, v4, v3
	s_delay_alu instid0(VALU_DEP_2) | instskip(NEXT) | instid1(VALU_DEP_2)
	v_fmac_f32_e32 v8, v4, v2
	v_fma_f32 v4, v2, v5, -v3
	s_delay_alu instid0(VALU_DEP_2) | instskip(NEXT) | instid1(VALU_DEP_2)
	v_cvt_f64_f32_e32 v[2:3], v8
	v_cvt_f64_f32_e32 v[4:5], v4
	s_delay_alu instid0(VALU_DEP_2) | instskip(NEXT) | instid1(VALU_DEP_2)
	v_mul_f64_e32 v[2:3], s[0:1], v[2:3]
	v_mul_f64_e32 v[4:5], s[0:1], v[4:5]
	s_delay_alu instid0(VALU_DEP_2) | instskip(NEXT) | instid1(VALU_DEP_2)
	v_cvt_f32_f64_e32 v2, v[2:3]
	v_cvt_f32_f64_e32 v3, v[4:5]
	global_store_b64 v[6:7], v[2:3], off
	global_load_b64 v[8:9], v104, s[12:13] offset:1344
	ds_load_2addr_b64 v[2:5], v109 offset0:168 offset1:224
	v_add_co_u32 v6, vcc_lo, v6, s2
	s_wait_alu 0xfffd
	v_add_co_ci_u32_e32 v7, vcc_lo, s3, v7, vcc_lo
	s_wait_loadcnt_dscnt 0x0
	v_mul_f32_e32 v12, v3, v9
	v_mul_f32_e32 v9, v2, v9
	s_delay_alu instid0(VALU_DEP_2) | instskip(NEXT) | instid1(VALU_DEP_2)
	v_fmac_f32_e32 v12, v2, v8
	v_fma_f32 v8, v8, v3, -v9
	s_delay_alu instid0(VALU_DEP_2) | instskip(NEXT) | instid1(VALU_DEP_2)
	v_cvt_f64_f32_e32 v[2:3], v12
	v_cvt_f64_f32_e32 v[8:9], v8
	s_delay_alu instid0(VALU_DEP_2) | instskip(NEXT) | instid1(VALU_DEP_2)
	v_mul_f64_e32 v[2:3], s[0:1], v[2:3]
	v_mul_f64_e32 v[8:9], s[0:1], v[8:9]
	s_delay_alu instid0(VALU_DEP_2) | instskip(NEXT) | instid1(VALU_DEP_2)
	v_cvt_f32_f64_e32 v2, v[2:3]
	v_cvt_f32_f64_e32 v3, v[8:9]
	global_store_b64 v[6:7], v[2:3], off
	global_load_b64 v[2:3], v104, s[12:13] offset:1792
	v_add_co_u32 v6, vcc_lo, v6, s2
	s_wait_alu 0xfffd
	v_add_co_ci_u32_e32 v7, vcc_lo, s3, v7, vcc_lo
	s_wait_loadcnt 0x0
	v_mul_f32_e32 v8, v5, v3
	v_mul_f32_e32 v3, v4, v3
	s_delay_alu instid0(VALU_DEP_2) | instskip(NEXT) | instid1(VALU_DEP_2)
	v_fmac_f32_e32 v8, v4, v2
	v_fma_f32 v4, v2, v5, -v3
	s_delay_alu instid0(VALU_DEP_2) | instskip(NEXT) | instid1(VALU_DEP_2)
	v_cvt_f64_f32_e32 v[2:3], v8
	v_cvt_f64_f32_e32 v[4:5], v4
	s_delay_alu instid0(VALU_DEP_2) | instskip(NEXT) | instid1(VALU_DEP_2)
	v_mul_f64_e32 v[2:3], s[0:1], v[2:3]
	v_mul_f64_e32 v[4:5], s[0:1], v[4:5]
	s_delay_alu instid0(VALU_DEP_2) | instskip(NEXT) | instid1(VALU_DEP_2)
	v_cvt_f32_f64_e32 v2, v[2:3]
	v_cvt_f32_f64_e32 v3, v[4:5]
	global_store_b64 v[6:7], v[2:3], off
	global_load_b64 v[8:9], v104, s[12:13] offset:2240
	ds_load_2addr_b64 v[2:5], v1 offset0:24 offset1:80
	v_add_co_u32 v6, vcc_lo, v6, s2
	s_wait_alu 0xfffd
	v_add_co_ci_u32_e32 v7, vcc_lo, s3, v7, vcc_lo
	s_wait_loadcnt_dscnt 0x0
	v_mul_f32_e32 v12, v3, v9
	v_mul_f32_e32 v9, v2, v9
	s_delay_alu instid0(VALU_DEP_2) | instskip(NEXT) | instid1(VALU_DEP_2)
	v_fmac_f32_e32 v12, v2, v8
	v_fma_f32 v8, v8, v3, -v9
	s_delay_alu instid0(VALU_DEP_2) | instskip(NEXT) | instid1(VALU_DEP_2)
	v_cvt_f64_f32_e32 v[2:3], v12
	v_cvt_f64_f32_e32 v[8:9], v8
	s_delay_alu instid0(VALU_DEP_2) | instskip(NEXT) | instid1(VALU_DEP_2)
	v_mul_f64_e32 v[2:3], s[0:1], v[2:3]
	v_mul_f64_e32 v[8:9], s[0:1], v[8:9]
	s_delay_alu instid0(VALU_DEP_2) | instskip(NEXT) | instid1(VALU_DEP_2)
	v_cvt_f32_f64_e32 v2, v[2:3]
	v_cvt_f32_f64_e32 v3, v[8:9]
	global_store_b64 v[6:7], v[2:3], off
	global_load_b64 v[2:3], v104, s[12:13] offset:2688
	s_wait_loadcnt 0x0
	v_mul_f32_e32 v8, v5, v3
	v_mul_f32_e32 v3, v4, v3
	s_delay_alu instid0(VALU_DEP_2) | instskip(NEXT) | instid1(VALU_DEP_2)
	v_fmac_f32_e32 v8, v4, v2
	v_fma_f32 v4, v2, v5, -v3
	s_delay_alu instid0(VALU_DEP_2) | instskip(NEXT) | instid1(VALU_DEP_2)
	v_cvt_f64_f32_e32 v[2:3], v8
	v_cvt_f64_f32_e32 v[4:5], v4
	s_delay_alu instid0(VALU_DEP_2) | instskip(NEXT) | instid1(VALU_DEP_2)
	v_mul_f64_e32 v[2:3], s[0:1], v[2:3]
	v_mul_f64_e32 v[4:5], s[0:1], v[4:5]
	s_delay_alu instid0(VALU_DEP_2) | instskip(NEXT) | instid1(VALU_DEP_2)
	v_cvt_f32_f64_e32 v2, v[2:3]
	v_cvt_f32_f64_e32 v3, v[4:5]
	v_add_co_u32 v5, vcc_lo, v6, s2
	s_wait_alu 0xfffd
	v_add_co_ci_u32_e32 v6, vcc_lo, s3, v7, vcc_lo
	global_store_b64 v[5:6], v[2:3], off
	global_load_b64 v[7:8], v104, s[12:13] offset:3136
	ds_load_2addr_b64 v[1:4], v1 offset0:136 offset1:192
	v_add_co_u32 v5, vcc_lo, v5, s2
	s_wait_alu 0xfffd
	v_add_co_ci_u32_e32 v6, vcc_lo, s3, v6, vcc_lo
	s_wait_loadcnt_dscnt 0x0
	v_mul_f32_e32 v9, v2, v8
	v_mul_f32_e32 v8, v1, v8
	s_delay_alu instid0(VALU_DEP_2) | instskip(NEXT) | instid1(VALU_DEP_2)
	v_fmac_f32_e32 v9, v1, v7
	v_fma_f32 v7, v7, v2, -v8
	s_delay_alu instid0(VALU_DEP_2) | instskip(NEXT) | instid1(VALU_DEP_2)
	v_cvt_f64_f32_e32 v[1:2], v9
	v_cvt_f64_f32_e32 v[7:8], v7
	s_delay_alu instid0(VALU_DEP_2) | instskip(NEXT) | instid1(VALU_DEP_2)
	v_mul_f64_e32 v[1:2], s[0:1], v[1:2]
	v_mul_f64_e32 v[7:8], s[0:1], v[7:8]
	s_delay_alu instid0(VALU_DEP_2) | instskip(NEXT) | instid1(VALU_DEP_2)
	v_cvt_f32_f64_e32 v1, v[1:2]
	v_cvt_f32_f64_e32 v2, v[7:8]
	global_store_b64 v[5:6], v[1:2], off
	global_load_b64 v[1:2], v104, s[12:13] offset:3584
	v_mad_co_u64_u32 v[5:6], null, 0x380, s4, v[5:6]
	s_wait_loadcnt 0x0
	v_mul_f32_e32 v7, v4, v2
	v_mul_f32_e32 v2, v3, v2
	s_delay_alu instid0(VALU_DEP_2) | instskip(NEXT) | instid1(VALU_DEP_2)
	v_fmac_f32_e32 v7, v3, v1
	v_fma_f32 v3, v1, v4, -v2
	s_delay_alu instid0(VALU_DEP_2) | instskip(NEXT) | instid1(VALU_DEP_2)
	v_cvt_f64_f32_e32 v[1:2], v7
	v_cvt_f64_f32_e32 v[3:4], v3
	v_mad_co_u64_u32 v[7:8], null, s4, v105, 0
	s_delay_alu instid0(VALU_DEP_3) | instskip(NEXT) | instid1(VALU_DEP_3)
	v_mul_f64_e32 v[1:2], s[0:1], v[1:2]
	v_mul_f64_e32 v[3:4], s[0:1], v[3:4]
	s_delay_alu instid0(VALU_DEP_2) | instskip(NEXT) | instid1(VALU_DEP_2)
	v_cvt_f32_f64_e32 v1, v[1:2]
	v_cvt_f32_f64_e32 v2, v[3:4]
	v_mov_b32_e32 v3, v8
	s_delay_alu instid0(VALU_DEP_1) | instskip(NEXT) | instid1(VALU_DEP_1)
	v_mad_co_u64_u32 v[3:4], null, s5, v105, v[3:4]
	v_mov_b32_e32 v8, v3
	s_delay_alu instid0(VALU_DEP_1) | instskip(NEXT) | instid1(VALU_DEP_1)
	v_lshlrev_b64_e32 v[3:4], 3, v[7:8]
	v_add_co_u32 v3, vcc_lo, v10, v3
	s_wait_alu 0xfffd
	s_delay_alu instid0(VALU_DEP_2)
	v_add_co_ci_u32_e32 v4, vcc_lo, v11, v4, vcc_lo
	global_store_b64 v[3:4], v[1:2], off
	global_load_b64 v[7:8], v104, s[12:13] offset:4032
	v_add_nc_u32_e32 v1, 0xc00, v109
	ds_load_2addr_b64 v[1:4], v1 offset0:120 offset1:176
	s_wait_loadcnt_dscnt 0x0
	v_mul_f32_e32 v9, v2, v8
	v_mul_f32_e32 v8, v1, v8
	s_delay_alu instid0(VALU_DEP_2) | instskip(NEXT) | instid1(VALU_DEP_2)
	v_fmac_f32_e32 v9, v1, v7
	v_fma_f32 v7, v7, v2, -v8
	s_delay_alu instid0(VALU_DEP_2) | instskip(NEXT) | instid1(VALU_DEP_2)
	v_cvt_f64_f32_e32 v[1:2], v9
	v_cvt_f64_f32_e32 v[7:8], v7
	s_delay_alu instid0(VALU_DEP_2) | instskip(NEXT) | instid1(VALU_DEP_2)
	v_mul_f64_e32 v[1:2], s[0:1], v[1:2]
	v_mul_f64_e32 v[7:8], s[0:1], v[7:8]
	s_delay_alu instid0(VALU_DEP_2) | instskip(NEXT) | instid1(VALU_DEP_2)
	v_cvt_f32_f64_e32 v1, v[1:2]
	v_cvt_f32_f64_e32 v2, v[7:8]
	v_mad_co_u64_u32 v[6:7], null, 0x380, s5, v[6:7]
	global_store_b64 v[5:6], v[1:2], off
	global_load_b64 v[1:2], v104, s[12:13] offset:4480
	s_wait_loadcnt 0x0
	v_mul_f32_e32 v7, v4, v2
	v_mul_f32_e32 v2, v3, v2
	s_delay_alu instid0(VALU_DEP_2) | instskip(NEXT) | instid1(VALU_DEP_2)
	v_fmac_f32_e32 v7, v3, v1
	v_fma_f32 v3, v1, v4, -v2
	s_delay_alu instid0(VALU_DEP_2) | instskip(NEXT) | instid1(VALU_DEP_2)
	v_cvt_f64_f32_e32 v[1:2], v7
	v_cvt_f64_f32_e32 v[3:4], v3
	s_delay_alu instid0(VALU_DEP_2) | instskip(NEXT) | instid1(VALU_DEP_2)
	v_mul_f64_e32 v[1:2], s[0:1], v[1:2]
	v_mul_f64_e32 v[3:4], s[0:1], v[3:4]
	s_delay_alu instid0(VALU_DEP_2) | instskip(NEXT) | instid1(VALU_DEP_2)
	v_cvt_f32_f64_e32 v1, v[1:2]
	v_cvt_f32_f64_e32 v2, v[3:4]
	v_add_co_u32 v4, vcc_lo, v5, s2
	s_wait_alu 0xfffd
	v_add_co_ci_u32_e32 v5, vcc_lo, s3, v6, vcc_lo
	global_store_b64 v[4:5], v[1:2], off
	global_load_b64 v[6:7], v104, s[12:13] offset:4928
	ds_load_2addr_b64 v[0:3], v0 offset0:104 offset1:160
	v_add_co_u32 v4, vcc_lo, v4, s2
	s_wait_alu 0xfffd
	v_add_co_ci_u32_e32 v5, vcc_lo, s3, v5, vcc_lo
	s_wait_loadcnt_dscnt 0x0
	v_mul_f32_e32 v8, v1, v7
	v_mul_f32_e32 v7, v0, v7
	s_delay_alu instid0(VALU_DEP_2) | instskip(NEXT) | instid1(VALU_DEP_2)
	v_fmac_f32_e32 v8, v0, v6
	v_fma_f32 v6, v6, v1, -v7
	s_delay_alu instid0(VALU_DEP_2) | instskip(NEXT) | instid1(VALU_DEP_2)
	v_cvt_f64_f32_e32 v[0:1], v8
	v_cvt_f64_f32_e32 v[6:7], v6
	s_delay_alu instid0(VALU_DEP_2) | instskip(NEXT) | instid1(VALU_DEP_2)
	v_mul_f64_e32 v[0:1], s[0:1], v[0:1]
	v_mul_f64_e32 v[6:7], s[0:1], v[6:7]
	s_delay_alu instid0(VALU_DEP_2) | instskip(NEXT) | instid1(VALU_DEP_2)
	v_cvt_f32_f64_e32 v0, v[0:1]
	v_cvt_f32_f64_e32 v1, v[6:7]
	global_store_b64 v[4:5], v[0:1], off
	global_load_b64 v[0:1], v104, s[12:13] offset:5376
	v_add_co_u32 v4, vcc_lo, v4, s2
	s_wait_alu 0xfffd
	v_add_co_ci_u32_e32 v5, vcc_lo, s3, v5, vcc_lo
	s_wait_loadcnt 0x0
	v_mul_f32_e32 v6, v3, v1
	v_mul_f32_e32 v1, v2, v1
	s_delay_alu instid0(VALU_DEP_2) | instskip(NEXT) | instid1(VALU_DEP_2)
	v_fmac_f32_e32 v6, v2, v0
	v_fma_f32 v2, v0, v3, -v1
	s_delay_alu instid0(VALU_DEP_2) | instskip(NEXT) | instid1(VALU_DEP_2)
	v_cvt_f64_f32_e32 v[0:1], v6
	v_cvt_f64_f32_e32 v[2:3], v2
	s_delay_alu instid0(VALU_DEP_2) | instskip(NEXT) | instid1(VALU_DEP_2)
	v_mul_f64_e32 v[0:1], s[0:1], v[0:1]
	v_mul_f64_e32 v[2:3], s[0:1], v[2:3]
	s_delay_alu instid0(VALU_DEP_2) | instskip(NEXT) | instid1(VALU_DEP_2)
	v_cvt_f32_f64_e32 v0, v[0:1]
	v_cvt_f32_f64_e32 v1, v[2:3]
	global_store_b64 v[4:5], v[0:1], off
	global_load_b64 v[6:7], v104, s[12:13] offset:5824
	v_add_nc_u32_e32 v0, 0x1400, v109
	v_add_co_u32 v4, vcc_lo, v4, s2
	s_wait_alu 0xfffd
	v_add_co_ci_u32_e32 v5, vcc_lo, s3, v5, vcc_lo
	ds_load_2addr_b64 v[0:3], v0 offset0:88 offset1:144
	s_wait_loadcnt_dscnt 0x0
	v_mul_f32_e32 v8, v1, v7
	v_mul_f32_e32 v7, v0, v7
	s_delay_alu instid0(VALU_DEP_2) | instskip(NEXT) | instid1(VALU_DEP_2)
	v_fmac_f32_e32 v8, v0, v6
	v_fma_f32 v6, v6, v1, -v7
	s_delay_alu instid0(VALU_DEP_2) | instskip(NEXT) | instid1(VALU_DEP_2)
	v_cvt_f64_f32_e32 v[0:1], v8
	v_cvt_f64_f32_e32 v[6:7], v6
	s_delay_alu instid0(VALU_DEP_2) | instskip(NEXT) | instid1(VALU_DEP_2)
	v_mul_f64_e32 v[0:1], s[0:1], v[0:1]
	v_mul_f64_e32 v[6:7], s[0:1], v[6:7]
	s_delay_alu instid0(VALU_DEP_2) | instskip(NEXT) | instid1(VALU_DEP_2)
	v_cvt_f32_f64_e32 v0, v[0:1]
	v_cvt_f32_f64_e32 v1, v[6:7]
	global_store_b64 v[4:5], v[0:1], off
	global_load_b64 v[0:1], v104, s[12:13] offset:6272
	v_add_co_u32 v4, vcc_lo, v4, s2
	s_wait_alu 0xfffd
	v_add_co_ci_u32_e32 v5, vcc_lo, s3, v5, vcc_lo
	s_wait_loadcnt 0x0
	v_mul_f32_e32 v6, v3, v1
	v_mul_f32_e32 v1, v2, v1
	s_delay_alu instid0(VALU_DEP_2) | instskip(NEXT) | instid1(VALU_DEP_2)
	v_fmac_f32_e32 v6, v2, v0
	v_fma_f32 v2, v0, v3, -v1
	s_delay_alu instid0(VALU_DEP_2) | instskip(NEXT) | instid1(VALU_DEP_2)
	v_cvt_f64_f32_e32 v[0:1], v6
	v_cvt_f64_f32_e32 v[2:3], v2
	s_delay_alu instid0(VALU_DEP_2) | instskip(NEXT) | instid1(VALU_DEP_2)
	v_mul_f64_e32 v[0:1], s[0:1], v[0:1]
	v_mul_f64_e32 v[2:3], s[0:1], v[2:3]
	s_delay_alu instid0(VALU_DEP_2) | instskip(NEXT) | instid1(VALU_DEP_2)
	v_cvt_f32_f64_e32 v0, v[0:1]
	v_cvt_f32_f64_e32 v1, v[2:3]
	global_store_b64 v[4:5], v[0:1], off
	global_load_b64 v[6:7], v104, s[12:13] offset:6720
	v_add_nc_u32_e32 v0, 0x1800, v109
	v_add_co_u32 v4, vcc_lo, v4, s2
	s_wait_alu 0xfffd
	v_add_co_ci_u32_e32 v5, vcc_lo, s3, v5, vcc_lo
	ds_load_2addr_b64 v[0:3], v0 offset0:72 offset1:128
	s_wait_loadcnt_dscnt 0x0
	v_mul_f32_e32 v8, v1, v7
	v_mul_f32_e32 v7, v0, v7
	s_delay_alu instid0(VALU_DEP_2) | instskip(NEXT) | instid1(VALU_DEP_2)
	v_fmac_f32_e32 v8, v0, v6
	v_fma_f32 v6, v6, v1, -v7
	s_delay_alu instid0(VALU_DEP_2) | instskip(NEXT) | instid1(VALU_DEP_2)
	v_cvt_f64_f32_e32 v[0:1], v8
	v_cvt_f64_f32_e32 v[6:7], v6
	s_delay_alu instid0(VALU_DEP_2) | instskip(NEXT) | instid1(VALU_DEP_2)
	v_mul_f64_e32 v[0:1], s[0:1], v[0:1]
	v_mul_f64_e32 v[6:7], s[0:1], v[6:7]
	s_delay_alu instid0(VALU_DEP_2) | instskip(NEXT) | instid1(VALU_DEP_2)
	v_cvt_f32_f64_e32 v0, v[0:1]
	v_cvt_f32_f64_e32 v1, v[6:7]
	global_store_b64 v[4:5], v[0:1], off
	global_load_b64 v[0:1], v104, s[12:13] offset:7168
	s_wait_loadcnt 0x0
	v_mul_f32_e32 v4, v3, v1
	v_mul_f32_e32 v1, v2, v1
	s_delay_alu instid0(VALU_DEP_2) | instskip(NEXT) | instid1(VALU_DEP_2)
	v_fmac_f32_e32 v4, v2, v0
	v_fma_f32 v2, v0, v3, -v1
	s_delay_alu instid0(VALU_DEP_2) | instskip(NEXT) | instid1(VALU_DEP_2)
	v_cvt_f64_f32_e32 v[0:1], v4
	v_cvt_f64_f32_e32 v[2:3], v2
	v_mad_co_u64_u32 v[4:5], null, s4, v103, 0
	s_delay_alu instid0(VALU_DEP_3) | instskip(NEXT) | instid1(VALU_DEP_3)
	v_mul_f64_e32 v[0:1], s[0:1], v[0:1]
	v_mul_f64_e32 v[2:3], s[0:1], v[2:3]
	s_delay_alu instid0(VALU_DEP_2) | instskip(NEXT) | instid1(VALU_DEP_2)
	v_cvt_f32_f64_e32 v0, v[0:1]
	v_cvt_f32_f64_e32 v1, v[2:3]
	v_mov_b32_e32 v2, v5
	s_delay_alu instid0(VALU_DEP_1) | instskip(NEXT) | instid1(VALU_DEP_1)
	v_mad_co_u64_u32 v[2:3], null, s5, v103, v[2:3]
	v_mov_b32_e32 v5, v2
	s_delay_alu instid0(VALU_DEP_1) | instskip(NEXT) | instid1(VALU_DEP_1)
	v_lshlrev_b64_e32 v[2:3], 3, v[4:5]
	v_add_co_u32 v2, vcc_lo, v10, v2
	s_wait_alu 0xfffd
	s_delay_alu instid0(VALU_DEP_2)
	v_add_co_ci_u32_e32 v3, vcc_lo, v11, v3, vcc_lo
	global_store_b64 v[2:3], v[0:1], off
.LBB0_23:
	s_nop 0
	s_sendmsg sendmsg(MSG_DEALLOC_VGPRS)
	s_endpgm
	.section	.rodata,"a",@progbits
	.p2align	6, 0x0
	.amdhsa_kernel bluestein_single_fwd_len952_dim1_sp_op_CI_CI
		.amdhsa_group_segment_fixed_size 22848
		.amdhsa_private_segment_fixed_size 0
		.amdhsa_kernarg_size 104
		.amdhsa_user_sgpr_count 2
		.amdhsa_user_sgpr_dispatch_ptr 0
		.amdhsa_user_sgpr_queue_ptr 0
		.amdhsa_user_sgpr_kernarg_segment_ptr 1
		.amdhsa_user_sgpr_dispatch_id 0
		.amdhsa_user_sgpr_private_segment_size 0
		.amdhsa_wavefront_size32 1
		.amdhsa_uses_dynamic_stack 0
		.amdhsa_enable_private_segment 0
		.amdhsa_system_sgpr_workgroup_id_x 1
		.amdhsa_system_sgpr_workgroup_id_y 0
		.amdhsa_system_sgpr_workgroup_id_z 0
		.amdhsa_system_sgpr_workgroup_info 0
		.amdhsa_system_vgpr_workitem_id 0
		.amdhsa_next_free_vgpr 241
		.amdhsa_next_free_sgpr 16
		.amdhsa_reserve_vcc 1
		.amdhsa_float_round_mode_32 0
		.amdhsa_float_round_mode_16_64 0
		.amdhsa_float_denorm_mode_32 3
		.amdhsa_float_denorm_mode_16_64 3
		.amdhsa_fp16_overflow 0
		.amdhsa_workgroup_processor_mode 1
		.amdhsa_memory_ordered 1
		.amdhsa_forward_progress 0
		.amdhsa_round_robin_scheduling 0
		.amdhsa_exception_fp_ieee_invalid_op 0
		.amdhsa_exception_fp_denorm_src 0
		.amdhsa_exception_fp_ieee_div_zero 0
		.amdhsa_exception_fp_ieee_overflow 0
		.amdhsa_exception_fp_ieee_underflow 0
		.amdhsa_exception_fp_ieee_inexact 0
		.amdhsa_exception_int_div_zero 0
	.end_amdhsa_kernel
	.text
.Lfunc_end0:
	.size	bluestein_single_fwd_len952_dim1_sp_op_CI_CI, .Lfunc_end0-bluestein_single_fwd_len952_dim1_sp_op_CI_CI
                                        ; -- End function
	.section	.AMDGPU.csdata,"",@progbits
; Kernel info:
; codeLenInByte = 23228
; NumSgprs: 18
; NumVgprs: 241
; ScratchSize: 0
; MemoryBound: 0
; FloatMode: 240
; IeeeMode: 1
; LDSByteSize: 22848 bytes/workgroup (compile time only)
; SGPRBlocks: 2
; VGPRBlocks: 30
; NumSGPRsForWavesPerEU: 18
; NumVGPRsForWavesPerEU: 241
; Occupancy: 5
; WaveLimiterHint : 1
; COMPUTE_PGM_RSRC2:SCRATCH_EN: 0
; COMPUTE_PGM_RSRC2:USER_SGPR: 2
; COMPUTE_PGM_RSRC2:TRAP_HANDLER: 0
; COMPUTE_PGM_RSRC2:TGID_X_EN: 1
; COMPUTE_PGM_RSRC2:TGID_Y_EN: 0
; COMPUTE_PGM_RSRC2:TGID_Z_EN: 0
; COMPUTE_PGM_RSRC2:TIDIG_COMP_CNT: 0
	.text
	.p2alignl 7, 3214868480
	.fill 96, 4, 3214868480
	.type	__hip_cuid_1c32bc1cdd2ef7a9,@object ; @__hip_cuid_1c32bc1cdd2ef7a9
	.section	.bss,"aw",@nobits
	.globl	__hip_cuid_1c32bc1cdd2ef7a9
__hip_cuid_1c32bc1cdd2ef7a9:
	.byte	0                               ; 0x0
	.size	__hip_cuid_1c32bc1cdd2ef7a9, 1

	.ident	"AMD clang version 19.0.0git (https://github.com/RadeonOpenCompute/llvm-project roc-6.4.0 25133 c7fe45cf4b819c5991fe208aaa96edf142730f1d)"
	.section	".note.GNU-stack","",@progbits
	.addrsig
	.addrsig_sym __hip_cuid_1c32bc1cdd2ef7a9
	.amdgpu_metadata
---
amdhsa.kernels:
  - .args:
      - .actual_access:  read_only
        .address_space:  global
        .offset:         0
        .size:           8
        .value_kind:     global_buffer
      - .actual_access:  read_only
        .address_space:  global
        .offset:         8
        .size:           8
        .value_kind:     global_buffer
      - .actual_access:  read_only
        .address_space:  global
        .offset:         16
        .size:           8
        .value_kind:     global_buffer
      - .actual_access:  read_only
        .address_space:  global
        .offset:         24
        .size:           8
        .value_kind:     global_buffer
      - .actual_access:  read_only
        .address_space:  global
        .offset:         32
        .size:           8
        .value_kind:     global_buffer
      - .offset:         40
        .size:           8
        .value_kind:     by_value
      - .address_space:  global
        .offset:         48
        .size:           8
        .value_kind:     global_buffer
      - .address_space:  global
        .offset:         56
        .size:           8
        .value_kind:     global_buffer
      - .address_space:  global
        .offset:         64
        .size:           8
        .value_kind:     global_buffer
      - .address_space:  global
        .offset:         72
        .size:           8
        .value_kind:     global_buffer
      - .offset:         80
        .size:           4
        .value_kind:     by_value
      - .address_space:  global
        .offset:         88
        .size:           8
        .value_kind:     global_buffer
      - .address_space:  global
        .offset:         96
        .size:           8
        .value_kind:     global_buffer
    .group_segment_fixed_size: 22848
    .kernarg_segment_align: 8
    .kernarg_segment_size: 104
    .language:       OpenCL C
    .language_version:
      - 2
      - 0
    .max_flat_workgroup_size: 204
    .name:           bluestein_single_fwd_len952_dim1_sp_op_CI_CI
    .private_segment_fixed_size: 0
    .sgpr_count:     18
    .sgpr_spill_count: 0
    .symbol:         bluestein_single_fwd_len952_dim1_sp_op_CI_CI.kd
    .uniform_work_group_size: 1
    .uses_dynamic_stack: false
    .vgpr_count:     241
    .vgpr_spill_count: 0
    .wavefront_size: 32
    .workgroup_processor_mode: 1
amdhsa.target:   amdgcn-amd-amdhsa--gfx1201
amdhsa.version:
  - 1
  - 2
...

	.end_amdgpu_metadata
